;; amdgpu-corpus repo=ROCm/rocFFT kind=compiled arch=gfx1201 opt=O3
	.text
	.amdgcn_target "amdgcn-amd-amdhsa--gfx1201"
	.amdhsa_code_object_version 6
	.protected	fft_rtc_fwd_len289_factors_17_17_wgs_119_tpt_17_dp_op_CI_CI_sbrc_xy_z_unaligned ; -- Begin function fft_rtc_fwd_len289_factors_17_17_wgs_119_tpt_17_dp_op_CI_CI_sbrc_xy_z_unaligned
	.globl	fft_rtc_fwd_len289_factors_17_17_wgs_119_tpt_17_dp_op_CI_CI_sbrc_xy_z_unaligned
	.p2align	8
	.type	fft_rtc_fwd_len289_factors_17_17_wgs_119_tpt_17_dp_op_CI_CI_sbrc_xy_z_unaligned,@function
fft_rtc_fwd_len289_factors_17_17_wgs_119_tpt_17_dp_op_CI_CI_sbrc_xy_z_unaligned: ; @fft_rtc_fwd_len289_factors_17_17_wgs_119_tpt_17_dp_op_CI_CI_sbrc_xy_z_unaligned
; %bb.0:
	s_load_b128 s[8:11], s[0:1], 0x10
	v_mov_b32_e32 v255, v0
	s_mov_b32 s2, ttmp9
	s_mov_b64 s[28:29], 0
	s_wait_kmcnt 0x0
	s_load_b128 s[4:7], s[8:9], 0x8
	s_clause 0x1
	s_load_b128 s[16:19], s[10:11], 0x0
	s_load_b64 s[24:25], s[10:11], 0x10
	s_wait_kmcnt 0x0
	s_add_co_i32 s3, s6, -1
	s_delay_alu instid0(SALU_CYCLE_1) | instskip(NEXT) | instid1(SALU_CYCLE_1)
	s_mul_hi_u32 s7, s3, 0x24924925
	s_sub_co_i32 s3, s3, s7
	s_delay_alu instid0(SALU_CYCLE_1) | instskip(NEXT) | instid1(SALU_CYCLE_1)
	s_lshr_b32 s3, s3, 1
	s_add_co_i32 s3, s3, s7
	s_delay_alu instid0(SALU_CYCLE_1) | instskip(NEXT) | instid1(SALU_CYCLE_1)
	s_lshr_b32 s3, s3, 2
	s_add_co_i32 s3, s3, 1
	s_delay_alu instid0(SALU_CYCLE_1) | instskip(NEXT) | instid1(SALU_CYCLE_1)
	s_mul_i32 s7, s3, s4
	s_cvt_f32_u32 s3, s7
	s_sub_co_i32 s8, 0, s7
	s_delay_alu instid0(SALU_CYCLE_2) | instskip(NEXT) | instid1(TRANS32_DEP_1)
	v_rcp_iflag_f32_e32 v0, s3
	v_readfirstlane_b32 s3, v0
	v_cvt_f32_u32_e32 v0, s4
	s_delay_alu instid0(VALU_DEP_2) | instskip(SKIP_1) | instid1(SALU_CYCLE_2)
	s_mul_f32 s3, s3, 0x4f7ffffe
	s_wait_alu 0xfffe
	s_cvt_u32_f32 s3, s3
	s_wait_alu 0xfffe
	s_delay_alu instid0(SALU_CYCLE_2) | instskip(NEXT) | instid1(SALU_CYCLE_1)
	s_mul_i32 s8, s8, s3
	s_mul_hi_u32 s8, s3, s8
	s_delay_alu instid0(SALU_CYCLE_1)
	s_add_co_i32 s3, s3, s8
	s_wait_alu 0xfffe
	s_mul_hi_u32 s3, ttmp9, s3
	s_wait_alu 0xfffe
	s_mul_i32 s8, s3, s7
	s_add_co_i32 s9, s3, 1
	s_sub_co_i32 s8, ttmp9, s8
	s_delay_alu instid0(SALU_CYCLE_1)
	s_sub_co_i32 s12, s8, s7
	s_cmp_ge_u32 s8, s7
	s_cselect_b32 s3, s9, s3
	s_cselect_b32 s8, s12, s8
	s_wait_alu 0xfffe
	s_add_co_i32 s9, s3, 1
	s_cmp_ge_u32 s8, s7
	s_cselect_b32 s20, s9, s3
	s_mov_b32 s3, 0
	s_mul_i32 s7, s20, s7
	s_wait_alu 0xfffe
	s_mov_b32 s9, s3
	s_sub_co_i32 s8, ttmp9, s7
	s_delay_alu instid0(SALU_CYCLE_1) | instskip(NEXT) | instid1(VALU_DEP_1)
	v_cmp_lt_u64_e64 s7, s[8:9], s[4:5]
	s_and_b32 vcc_lo, exec_lo, s7
	s_cbranch_vccnz .LBB0_2
; %bb.1:
	v_rcp_iflag_f32_e32 v1, v0
	s_sub_co_i32 s9, 0, s4
	s_delay_alu instid0(TRANS32_DEP_1) | instskip(NEXT) | instid1(VALU_DEP_1)
	v_mul_f32_e32 v1, 0x4f7ffffe, v1
	v_cvt_u32_f32_e32 v1, v1
	s_delay_alu instid0(VALU_DEP_1) | instskip(SKIP_1) | instid1(VALU_DEP_1)
	v_readfirstlane_b32 s7, v1
	s_wait_alu 0xfffe
	s_mul_i32 s9, s9, s7
	s_wait_alu 0xfffe
	s_mul_hi_u32 s9, s7, s9
	s_wait_alu 0xfffe
	s_add_co_i32 s7, s7, s9
	s_delay_alu instid0(SALU_CYCLE_1) | instskip(NEXT) | instid1(SALU_CYCLE_1)
	s_mul_hi_u32 s7, s8, s7
	s_mul_i32 s9, s7, s4
	s_wait_alu 0xfffe
	s_sub_co_i32 s8, s8, s9
	s_add_co_i32 s9, s7, 1
	s_wait_alu 0xfffe
	s_sub_co_i32 s12, s8, s4
	s_cmp_ge_u32 s8, s4
	s_cselect_b32 s7, s9, s7
	s_cselect_b32 s8, s12, s8
	s_add_co_i32 s9, s7, 1
	s_wait_alu 0xfffe
	s_cmp_ge_u32 s8, s4
	s_cselect_b32 s28, s9, s7
.LBB0_2:
	s_load_b64 s[22:23], s[0:1], 0x20
	v_cmp_lt_u64_e64 s3, s[2:3], s[4:5]
	s_delay_alu instid0(VALU_DEP_1)
	s_and_b32 vcc_lo, exec_lo, s3
	s_cbranch_vccnz .LBB0_4
; %bb.3:
	v_rcp_iflag_f32_e32 v0, v0
	s_sub_co_i32 s5, 0, s4
	s_delay_alu instid0(TRANS32_DEP_1) | instskip(NEXT) | instid1(VALU_DEP_1)
	v_mul_f32_e32 v0, 0x4f7ffffe, v0
	v_cvt_u32_f32_e32 v0, v0
	s_delay_alu instid0(VALU_DEP_1) | instskip(SKIP_1) | instid1(VALU_DEP_1)
	v_readfirstlane_b32 s3, v0
	s_wait_alu 0xfffe
	s_mul_i32 s5, s5, s3
	s_wait_alu 0xfffe
	s_mul_hi_u32 s5, s3, s5
	s_wait_alu 0xfffe
	s_add_co_i32 s3, s3, s5
	s_wait_alu 0xfffe
	s_mul_hi_u32 s3, s2, s3
	s_wait_alu 0xfffe
	s_mul_i32 s3, s3, s4
	s_wait_alu 0xfffe
	s_sub_co_i32 s2, s2, s3
	s_wait_alu 0xfffe
	s_sub_co_i32 s3, s2, s4
	s_cmp_ge_u32 s2, s4
	s_wait_alu 0xfffe
	s_cselect_b32 s2, s3, s2
	s_wait_alu 0xfffe
	s_sub_co_i32 s3, s2, s4
	s_cmp_ge_u32 s2, s4
	s_wait_alu 0xfffe
	s_cselect_b32 s2, s3, s2
.LBB0_4:
	s_clause 0x1
	s_load_b128 s[12:15], s[0:1], 0x0
	s_load_b64 s[26:27], s[0:1], 0x58
	s_mov_b32 s21, 0
	v_lshl_add_u32 v2, v255, 4, 0
	s_mov_b32 s19, s21
	s_mov_b32 s3, -1
	s_wait_kmcnt 0x0
	s_lshl_b64 s[4:5], s[14:15], 3
	s_wait_alu 0xfffe
	s_add_nc_u64 s[8:9], s[10:11], s[4:5]
	s_add_nc_u64 s[4:5], s[22:23], s[4:5]
	s_load_b64 s[30:31], s[8:9], 0x0
	s_clause 0x2
	s_load_b128 s[8:11], s[22:23], 0x0
	s_load_b64 s[22:23], s[22:23], 0x10
	s_load_b64 s[14:15], s[4:5], 0x0
	s_mul_i32 s4, s28, 7
	s_mul_i32 s5, s2, s18
	s_wait_alu 0xfffe
	s_mul_i32 s7, s4, s24
	s_wait_kmcnt 0x0
	s_add_co_i32 s11, s4, 7
	s_add_co_i32 s18, s5, s7
	s_cmp_le_u32 s11, s6
	s_cselect_b32 s5, -1, 0
	s_wait_alu 0xfffe
	s_and_b32 vcc_lo, exec_lo, s5
	s_mul_u64 s[28:29], s[30:31], s[20:21]
	s_delay_alu instid0(SALU_CYCLE_1)
	s_add_nc_u64 s[18:19], s[28:29], s[18:19]
	s_cbranch_vccnz .LBB0_8
; %bb.5:
	v_dual_mov_b32 v1, 0 :: v_dual_mov_b32 v4, v2
	v_mov_b32_e32 v3, v255
	s_lshl_b64 s[28:29], s[18:19], 4
	s_mov_b32 s3, s21
	s_add_nc_u64 s[28:29], s[26:27], s[28:29]
.LBB0_6:                                ; =>This Inner Loop Header: Depth=1
	s_delay_alu instid0(VALU_DEP_1) | instskip(NEXT) | instid1(VALU_DEP_1)
	v_and_b32_e32 v0, 0xffff, v3
	v_mul_u32_u24_e32 v0, 0xe2c5, v0
	s_delay_alu instid0(VALU_DEP_1) | instskip(NEXT) | instid1(VALU_DEP_1)
	v_lshrrev_b32_e32 v8, 24, v0
	v_mul_lo_u16 v0, 0x121, v8
	s_delay_alu instid0(VALU_DEP_1) | instskip(SKIP_1) | instid1(VALU_DEP_2)
	v_sub_nc_u16 v0, v3, v0
	v_add_nc_u32_e32 v3, 0x77, v3
	v_and_b32_e32 v7, 0xffff, v0
	s_delay_alu instid0(VALU_DEP_1) | instskip(NEXT) | instid1(VALU_DEP_1)
	v_mad_co_u64_u32 v[5:6], null, s16, v7, 0
	v_mov_b32_e32 v0, v6
	s_delay_alu instid0(VALU_DEP_1) | instskip(SKIP_1) | instid1(VALU_DEP_2)
	v_mad_co_u64_u32 v[6:7], null, s17, v7, v[0:1]
	v_mul_lo_u32 v0, s24, v8
	v_lshlrev_b64_e32 v[5:6], 4, v[5:6]
	s_delay_alu instid0(VALU_DEP_2) | instskip(NEXT) | instid1(VALU_DEP_2)
	v_lshlrev_b64_e32 v[7:8], 4, v[0:1]
	v_add_co_u32 v0, vcc_lo, s28, v5
	s_wait_alu 0xfffd
	s_delay_alu instid0(VALU_DEP_3) | instskip(NEXT) | instid1(VALU_DEP_2)
	v_add_co_ci_u32_e32 v6, vcc_lo, s29, v6, vcc_lo
	v_add_co_u32 v5, vcc_lo, v0, v7
	s_wait_alu 0xfffd
	s_delay_alu instid0(VALU_DEP_2)
	v_add_co_ci_u32_e32 v6, vcc_lo, v6, v8, vcc_lo
	v_cmp_lt_u32_e32 vcc_lo, 0x7e6, v3
	global_load_b128 v[5:8], v[5:6], off
	s_wait_alu 0xfffe
	s_or_b32 s3, vcc_lo, s3
	s_wait_loadcnt 0x0
	ds_store_b128 v4, v[5:8]
	v_add_nc_u32_e32 v4, 0x770, v4
	s_wait_alu 0xfffe
	s_and_not1_b32 exec_lo, exec_lo, s3
	s_cbranch_execnz .LBB0_6
; %bb.7:
	s_or_b32 exec_lo, exec_lo, s3
	s_mov_b32 s3, 0
.LBB0_8:
	v_and_b32_e32 v0, 0xffff, v255
	s_wait_alu 0xfffe
	s_and_b32 vcc_lo, exec_lo, s3
	s_wait_alu 0xfffe
	s_cbranch_vccz .LBB0_10
; %bb.9:
	v_add_nc_u32_e32 v9, 0xee, v255
	v_mad_co_u64_u32 v[3:4], null, s16, v0, 0
	v_add_nc_u32_e32 v10, 0x77, v255
	v_add_nc_u32_e32 v19, 0x253, v255
	s_delay_alu instid0(VALU_DEP_4)
	v_mul_u32_u24_e32 v1, 0xe3, v9
	s_lshl_b64 s[18:19], s[18:19], 4
	v_add_nc_u32_e32 v49, 0x594, v255
	s_add_nc_u64 s[18:19], s[26:27], s[18:19]
	v_add_nc_u32_e32 v55, 0x60b, v255
	v_lshrrev_b32_e32 v15, 16, v1
	v_mov_b32_e32 v1, v4
	v_mad_co_u64_u32 v[5:6], null, s16, v10, 0
	v_add_nc_u32_e32 v61, 0x6f9, v255
	s_delay_alu instid0(VALU_DEP_4) | instskip(NEXT) | instid1(VALU_DEP_4)
	v_mul_lo_u16 v4, 0x121, v15
	v_mad_co_u64_u32 v[7:8], null, s17, v0, v[1:2]
	v_add_nc_u32_e32 v16, 0x1dc, v255
	v_mul_lo_u32 v51, s24, v15
	v_mov_b32_e32 v1, v6
	v_sub_nc_u16 v4, v9, v4
	v_mul_u32_u24_e32 v63, 0x717, v61
	v_dual_mov_b32 v52, 0 :: v_dual_add_nc_u32 v65, 0x770, v255
	s_delay_alu instid0(VALU_DEP_4)
	v_mad_co_u64_u32 v[8:9], null, s17, v10, v[1:2]
	v_add_nc_u32_e32 v13, 0x165, v255
	v_and_b32_e32 v9, 0xffff, v4
	v_mul_u32_u24_e32 v10, 0xe3, v16
	v_mov_b32_e32 v4, v7
	v_lshrrev_b32_e32 v68, 19, v63
	v_add_nc_u32_e32 v24, 0x2ca, v255
	v_mov_b32_e32 v6, v8
	v_mul_u32_u24_e32 v11, 0xe3, v13
	v_lshrrev_b32_e32 v21, 16, v10
	v_lshlrev_b64_e32 v[3:4], 4, v[3:4]
	v_mul_u32_u24_e32 v25, 0xe3, v24
	v_lshlrev_b64_e32 v[5:6], 4, v[5:6]
	v_lshrrev_b32_e32 v17, 16, v11
	v_mad_co_u64_u32 v[11:12], null, s16, v9, 0
	v_mul_lo_u16 v20, 0x121, v21
	v_add_co_u32 v3, vcc_lo, s18, v3
	s_delay_alu instid0(VALU_DEP_4)
	v_mul_lo_u16 v1, 0x121, v17
	s_wait_alu 0xfffd
	v_add_co_ci_u32_e32 v4, vcc_lo, s19, v4, vcc_lo
	v_sub_nc_u16 v16, v16, v20
	v_mul_u32_u24_e32 v20, 0xe3, v19
	v_sub_nc_u16 v1, v13, v1
	v_add_co_u32 v7, vcc_lo, s18, v5
	s_wait_alu 0xfffd
	v_add_co_ci_u32_e32 v8, vcc_lo, s19, v6, vcc_lo
	s_delay_alu instid0(VALU_DEP_3) | instskip(SKIP_3) | instid1(VALU_DEP_4)
	v_dual_mov_b32 v1, v12 :: v_dual_and_b32 v18, 0xffff, v1
	v_lshrrev_b32_e32 v22, 16, v20
	v_lshrrev_b32_e32 v31, 16, v25
	v_add_nc_u32_e32 v32, 0x3b8, v255
	v_mad_co_u64_u32 v[12:13], null, s17, v9, v[1:2]
	v_mad_co_u64_u32 v[13:14], null, s16, v18, 0
	v_mul_lo_u16 v23, 0x121, v22
	s_clause 0x1
	global_load_b128 v[3:6], v[3:4], off
	global_load_b128 v[7:10], v[7:8], off
	v_lshlrev_b64_e32 v[11:12], 4, v[11:12]
	v_sub_nc_u16 v19, v19, v23
	v_mov_b32_e32 v1, v14
	s_delay_alu instid0(VALU_DEP_2) | instskip(NEXT) | instid1(VALU_DEP_2)
	v_and_b32_e32 v23, 0xffff, v19
	v_mad_co_u64_u32 v[14:15], null, s17, v18, v[1:2]
	v_and_b32_e32 v18, 0xffff, v16
	v_add_co_u32 v1, vcc_lo, s18, v11
	s_wait_alu 0xfffd
	v_add_co_ci_u32_e32 v20, vcc_lo, s19, v12, vcc_lo
	s_delay_alu instid0(VALU_DEP_3) | instskip(SKIP_3) | instid1(VALU_DEP_3)
	v_mad_co_u64_u32 v[15:16], null, s16, v18, 0
	v_lshlrev_b64_e32 v[11:12], 4, v[51:52]
	v_mul_lo_u32 v51, s24, v17
	v_lshlrev_b64_e32 v[13:14], 4, v[13:14]
	v_add_co_u32 v11, vcc_lo, v1, v11
	v_mov_b32_e32 v1, v16
	s_wait_alu 0xfffd
	v_add_co_ci_u32_e32 v12, vcc_lo, v20, v12, vcc_lo
	v_lshlrev_b64_e32 v[19:20], 4, v[51:52]
	v_add_co_u32 v13, vcc_lo, s18, v13
	v_mad_co_u64_u32 v[16:17], null, s17, v18, v[1:2]
	v_mad_co_u64_u32 v[17:18], null, s16, v23, 0
	s_wait_alu 0xfffd
	v_add_co_ci_u32_e32 v14, vcc_lo, s19, v14, vcc_lo
	v_add_co_u32 v19, vcc_lo, v13, v19
	v_mul_lo_u32 v51, s24, v21
	s_wait_alu 0xfffd
	s_delay_alu instid0(VALU_DEP_3) | instskip(SKIP_3) | instid1(VALU_DEP_3)
	v_add_co_ci_u32_e32 v20, vcc_lo, v14, v20, vcc_lo
	v_mov_b32_e32 v1, v18
	v_mul_lo_u16 v18, 0x121, v31
	v_lshlrev_b64_e32 v[13:14], 4, v[15:16]
	v_mad_co_u64_u32 v[15:16], null, s17, v23, v[1:2]
	s_delay_alu instid0(VALU_DEP_3) | instskip(SKIP_1) | instid1(VALU_DEP_4)
	v_sub_nc_u16 v1, v24, v18
	v_add_nc_u32_e32 v23, 0x341, v255
	v_add_co_u32 v21, vcc_lo, s18, v13
	s_wait_alu 0xfffd
	v_add_co_ci_u32_e32 v24, vcc_lo, s19, v14, vcc_lo
	v_and_b32_e32 v25, 0xffff, v1
	v_mul_u32_u24_e32 v1, 0xe3, v23
	v_mov_b32_e32 v18, v15
	v_lshlrev_b64_e32 v[13:14], 4, v[51:52]
	v_mul_lo_u32 v51, s24, v22
	v_mad_co_u64_u32 v[27:28], null, s16, v25, 0
	v_lshrrev_b32_e32 v33, 16, v1
	v_lshlrev_b64_e32 v[15:16], 4, v[17:18]
	v_add_co_u32 v21, vcc_lo, v21, v13
	s_wait_alu 0xfffd
	v_add_co_ci_u32_e32 v22, vcc_lo, v24, v14, vcc_lo
	v_mul_lo_u16 v17, 0x121, v33
	v_lshlrev_b64_e32 v[13:14], 4, v[51:52]
	v_add_co_u32 v15, vcc_lo, s18, v15
	s_wait_alu 0xfffd
	v_add_co_ci_u32_e32 v16, vcc_lo, s19, v16, vcc_lo
	v_sub_nc_u16 v17, v23, v17
	s_delay_alu instid0(VALU_DEP_3) | instskip(SKIP_1) | instid1(VALU_DEP_3)
	v_add_co_u32 v23, vcc_lo, v15, v13
	v_mul_u32_u24_e32 v13, 0x717, v32
	v_dual_mov_b32 v1, v28 :: v_dual_and_b32 v34, 0xffff, v17
	v_mul_lo_u32 v51, s24, v31
	s_wait_alu 0xfffd
	v_add_co_ci_u32_e32 v24, vcc_lo, v16, v14, vcc_lo
	v_lshrrev_b32_e32 v37, 19, v13
	v_mad_co_u64_u32 v[28:29], null, s17, v25, v[1:2]
	v_mad_co_u64_u32 v[29:30], null, s16, v34, 0
	s_delay_alu instid0(VALU_DEP_3)
	v_mul_lo_u16 v35, 0x121, v37
	v_add_nc_u32_e32 v36, 0x42f, v255
	s_clause 0x3
	global_load_b128 v[11:14], v[11:12], off
	global_load_b128 v[15:18], v[19:20], off
	;; [unrolled: 1-line block ×4, first 2 shown]
	v_lshlrev_b64_e32 v[27:28], 4, v[27:28]
	v_sub_nc_u16 v32, v32, v35
	v_mov_b32_e32 v1, v30
	v_mul_u32_u24_e32 v35, 0x717, v36
	s_delay_alu instid0(VALU_DEP_2) | instskip(NEXT) | instid1(VALU_DEP_2)
	v_mad_co_u64_u32 v[30:31], null, s17, v34, v[1:2]
	v_lshrrev_b32_e32 v38, 19, v35
	v_and_b32_e32 v34, 0xffff, v32
	v_add_co_u32 v1, vcc_lo, s18, v27
	s_wait_alu 0xfffd
	v_add_co_ci_u32_e32 v35, vcc_lo, s19, v28, vcc_lo
	v_mul_lo_u16 v39, 0x121, v38
	v_mad_co_u64_u32 v[31:32], null, s16, v34, 0
	v_lshlrev_b64_e32 v[27:28], 4, v[51:52]
	v_mul_lo_u32 v51, s24, v33
	s_delay_alu instid0(VALU_DEP_4) | instskip(SKIP_1) | instid1(VALU_DEP_4)
	v_sub_nc_u16 v36, v36, v39
	v_lshlrev_b64_e32 v[29:30], 4, v[29:30]
	v_add_co_u32 v27, vcc_lo, v1, v27
	v_mov_b32_e32 v1, v32
	s_delay_alu instid0(VALU_DEP_4)
	v_and_b32_e32 v39, 0xffff, v36
	s_wait_alu 0xfffd
	v_add_co_ci_u32_e32 v28, vcc_lo, v35, v28, vcc_lo
	v_lshlrev_b64_e32 v[35:36], 4, v[51:52]
	v_mad_co_u64_u32 v[32:33], null, s17, v34, v[1:2]
	v_mad_co_u64_u32 v[33:34], null, s16, v39, 0
	v_add_nc_u32_e32 v40, 0x4a6, v255
	v_add_co_u32 v29, vcc_lo, s18, v29
	s_wait_alu 0xfffd
	v_add_co_ci_u32_e32 v30, vcc_lo, s19, v30, vcc_lo
	v_mul_lo_u32 v51, s24, v37
	v_mov_b32_e32 v1, v34
	v_mul_u32_u24_e32 v41, 0x717, v40
	v_add_co_u32 v35, vcc_lo, v29, v35
	s_wait_alu 0xfffd
	v_add_co_ci_u32_e32 v36, vcc_lo, v30, v36, vcc_lo
	s_delay_alu instid0(VALU_DEP_3) | instskip(SKIP_3) | instid1(VALU_DEP_4)
	v_lshrrev_b32_e32 v47, 19, v41
	v_lshlrev_b64_e32 v[29:30], 4, v[31:32]
	v_mad_co_u64_u32 v[31:32], null, s17, v39, v[1:2]
	v_add_nc_u32_e32 v39, 0x51d, v255
	v_mul_lo_u16 v34, 0x121, v47
	s_delay_alu instid0(VALU_DEP_4) | instskip(NEXT) | instid1(VALU_DEP_2)
	v_add_co_u32 v37, vcc_lo, s18, v29
	v_sub_nc_u16 v1, v40, v34
	v_mov_b32_e32 v34, v31
	s_wait_alu 0xfffd
	v_add_co_ci_u32_e32 v40, vcc_lo, s19, v30, vcc_lo
	v_lshlrev_b64_e32 v[29:30], 4, v[51:52]
	v_and_b32_e32 v41, 0xffff, v1
	v_mul_u32_u24_e32 v1, 0x717, v39
	v_lshlrev_b64_e32 v[31:32], 4, v[33:34]
	v_mul_lo_u32 v51, s24, v38
	s_delay_alu instid0(VALU_DEP_4) | instskip(NEXT) | instid1(VALU_DEP_4)
	v_mad_co_u64_u32 v[43:44], null, s16, v41, 0
	v_lshrrev_b32_e32 v48, 19, v1
	v_add_co_u32 v37, vcc_lo, v37, v29
	s_wait_alu 0xfffd
	v_add_co_ci_u32_e32 v38, vcc_lo, v40, v30, vcc_lo
	s_delay_alu instid0(VALU_DEP_3) | instskip(SKIP_3) | instid1(VALU_DEP_4)
	v_mul_lo_u16 v33, 0x121, v48
	v_lshlrev_b64_e32 v[29:30], 4, v[51:52]
	v_add_co_u32 v31, vcc_lo, s18, v31
	v_mul_lo_u32 v51, s24, v47
	v_sub_nc_u16 v33, v39, v33
	v_mov_b32_e32 v1, v44
	s_wait_alu 0xfffd
	v_add_co_ci_u32_e32 v32, vcc_lo, s19, v32, vcc_lo
	v_add_co_u32 v39, vcc_lo, v31, v29
	v_and_b32_e32 v50, 0xffff, v33
	v_mad_co_u64_u32 v[44:45], null, s17, v41, v[1:2]
	v_mul_u32_u24_e32 v1, 0x717, v49
	s_wait_alu 0xfffd
	v_add_co_ci_u32_e32 v40, vcc_lo, v32, v30, vcc_lo
	v_mad_co_u64_u32 v[45:46], null, s16, v50, 0
	s_delay_alu instid0(VALU_DEP_3)
	v_lshrrev_b32_e32 v57, 19, v1
	v_lshlrev_b64_e32 v[43:44], 4, v[43:44]
	s_clause 0x3
	global_load_b128 v[27:30], v[27:28], off
	global_load_b128 v[31:34], v[35:36], off
	;; [unrolled: 1-line block ×4, first 2 shown]
	v_mul_lo_u16 v53, 0x121, v57
	v_mov_b32_e32 v1, v46
	s_delay_alu instid0(VALU_DEP_1) | instskip(SKIP_1) | instid1(VALU_DEP_4)
	v_mad_co_u64_u32 v[46:47], null, s17, v50, v[1:2]
	v_mul_u32_u24_e32 v47, 0x717, v55
	v_sub_nc_u16 v1, v49, v53
	v_add_co_u32 v49, vcc_lo, s18, v43
	s_wait_alu 0xfffd
	v_add_co_ci_u32_e32 v50, vcc_lo, s19, v44, vcc_lo
	v_lshrrev_b32_e32 v59, 19, v47
	v_and_b32_e32 v56, 0xffff, v1
	v_lshlrev_b64_e32 v[43:44], 4, v[51:52]
	v_mul_lo_u32 v51, s24, v48
	v_lshlrev_b64_e32 v[45:46], 4, v[45:46]
	v_mul_lo_u16 v47, 0x121, v59
	v_mad_co_u64_u32 v[53:54], null, s16, v56, 0
	v_add_co_u32 v43, vcc_lo, v49, v43
	s_delay_alu instid0(VALU_DEP_3) | instskip(SKIP_3) | instid1(VALU_DEP_3)
	v_sub_nc_u16 v49, v55, v47
	s_wait_alu 0xfffd
	v_add_co_ci_u32_e32 v44, vcc_lo, v50, v44, vcc_lo
	v_add_co_u32 v50, vcc_lo, s18, v45
	v_dual_mov_b32 v1, v54 :: v_dual_and_b32 v58, 0xffff, v49
	s_wait_alu 0xfffd
	v_add_co_ci_u32_e32 v54, vcc_lo, s19, v46, vcc_lo
	v_lshlrev_b64_e32 v[45:46], 4, v[51:52]
	s_delay_alu instid0(VALU_DEP_3) | instskip(SKIP_2) | instid1(VALU_DEP_4)
	v_mad_co_u64_u32 v[47:48], null, s17, v56, v[1:2]
	v_mad_co_u64_u32 v[55:56], null, s16, v58, 0
	v_add_nc_u32_e32 v60, 0x682, v255
	v_add_co_u32 v48, vcc_lo, v50, v45
	s_wait_alu 0xfffd
	v_add_co_ci_u32_e32 v49, vcc_lo, v54, v46, vcc_lo
	s_delay_alu instid0(VALU_DEP_3)
	v_mul_u32_u24_e32 v1, 0x717, v60
	v_mov_b32_e32 v54, v47
	v_mul_lo_u32 v51, s24, v57
	s_clause 0x1
	global_load_b128 v[43:46], v[43:44], off
	global_load_b128 v[47:50], v[48:49], off
	v_lshrrev_b32_e32 v64, 19, v1
	v_mov_b32_e32 v1, v56
	v_lshlrev_b64_e32 v[53:54], 4, v[53:54]
	s_delay_alu instid0(VALU_DEP_3) | instskip(NEXT) | instid1(VALU_DEP_3)
	v_mul_lo_u16 v62, 0x121, v64
	v_mad_co_u64_u32 v[56:57], null, s17, v58, v[1:2]
	v_mul_u32_u24_e32 v57, 0x717, v65
	s_delay_alu instid0(VALU_DEP_3) | instskip(SKIP_1) | instid1(VALU_DEP_3)
	v_sub_nc_u16 v1, v60, v62
	v_add_co_u32 v60, vcc_lo, s18, v53
	v_lshrrev_b32_e32 v69, 19, v57
	s_wait_alu 0xfffd
	v_add_co_ci_u32_e32 v62, vcc_lo, s19, v54, vcc_lo
	v_and_b32_e32 v63, 0xffff, v1
	v_mul_lo_u16 v1, 0x121, v68
	v_lshlrev_b64_e32 v[53:54], 4, v[51:52]
	v_mul_lo_u16 v51, 0x121, v69
	v_lshlrev_b64_e32 v[55:56], 4, v[55:56]
	v_mad_co_u64_u32 v[57:58], null, s16, v63, 0
	v_sub_nc_u16 v1, v61, v1
	v_add_co_u32 v53, vcc_lo, v60, v53
	v_sub_nc_u16 v60, v65, v51
	v_mul_lo_u32 v51, s24, v59
	s_delay_alu instid0(VALU_DEP_4)
	v_and_b32_e32 v65, 0xffff, v1
	v_mov_b32_e32 v1, v58
	s_wait_alu 0xfffd
	v_add_co_ci_u32_e32 v54, vcc_lo, v62, v54, vcc_lo
	v_and_b32_e32 v66, 0xffff, v60
	v_mad_co_u64_u32 v[59:60], null, s16, v65, 0
	v_mad_co_u64_u32 v[61:62], null, s17, v63, v[1:2]
	s_delay_alu instid0(VALU_DEP_3) | instskip(SKIP_1) | instid1(VALU_DEP_4)
	v_mad_co_u64_u32 v[62:63], null, s16, v66, 0
	v_add_co_u32 v67, vcc_lo, s18, v55
	v_mov_b32_e32 v1, v60
	s_wait_alu 0xfffd
	v_add_co_ci_u32_e32 v70, vcc_lo, s19, v56, vcc_lo
	v_mov_b32_e32 v58, v61
	v_lshlrev_b64_e32 v[55:56], 4, v[51:52]
	v_mul_lo_u32 v51, s24, v64
	v_mad_co_u64_u32 v[60:61], null, s17, v65, v[1:2]
	v_mov_b32_e32 v1, v63
	v_lshlrev_b64_e32 v[57:58], 4, v[57:58]
	v_add_co_u32 v55, vcc_lo, v67, v55
	s_wait_alu 0xfffd
	v_add_co_ci_u32_e32 v56, vcc_lo, v70, v56, vcc_lo
	v_mad_co_u64_u32 v[66:67], null, s17, v66, v[1:2]
	v_lshlrev_b64_e32 v[64:65], 4, v[51:52]
	v_mul_lo_u32 v51, s24, v68
	v_add_co_u32 v1, vcc_lo, s18, v57
	s_wait_alu 0xfffd
	v_add_co_ci_u32_e32 v61, vcc_lo, s19, v58, vcc_lo
	v_mov_b32_e32 v63, v66
	v_lshlrev_b64_e32 v[57:58], 4, v[59:60]
	v_add_co_u32 v59, vcc_lo, v1, v64
	s_wait_alu 0xfffd
	v_add_co_ci_u32_e32 v60, vcc_lo, v61, v65, vcc_lo
	v_lshlrev_b64_e32 v[64:65], 4, v[51:52]
	v_mul_lo_u32 v51, s24, v69
	v_lshlrev_b64_e32 v[61:62], 4, v[62:63]
	v_add_co_u32 v1, vcc_lo, s18, v57
	s_wait_alu 0xfffd
	v_add_co_ci_u32_e32 v57, vcc_lo, s19, v58, vcc_lo
	s_delay_alu instid0(VALU_DEP_3)
	v_add_co_u32 v58, vcc_lo, s18, v61
	v_lshlrev_b64_e32 v[51:52], 4, v[51:52]
	s_wait_alu 0xfffd
	v_add_co_ci_u32_e32 v61, vcc_lo, s19, v62, vcc_lo
	v_add_co_u32 v63, vcc_lo, v1, v64
	s_wait_alu 0xfffd
	v_add_co_ci_u32_e32 v64, vcc_lo, v57, v65, vcc_lo
	v_add_co_u32 v67, vcc_lo, v58, v51
	s_wait_alu 0xfffd
	v_add_co_ci_u32_e32 v68, vcc_lo, v61, v52, vcc_lo
	s_clause 0x4
	global_load_b128 v[51:54], v[53:54], off
	global_load_b128 v[55:58], v[55:56], off
	;; [unrolled: 1-line block ×5, first 2 shown]
	s_wait_loadcnt 0x10
	ds_store_b128 v2, v[3:6]
	s_wait_loadcnt 0xf
	ds_store_b128 v2, v[7:10] offset:1904
	s_wait_loadcnt 0xe
	ds_store_b128 v2, v[11:14] offset:3808
	;; [unrolled: 2-line block ×16, first 2 shown]
.LBB0_10:
	v_mul_u32_u24_e32 v0, 0xf10, v0
	global_wb scope:SCOPE_SE
	s_wait_dscnt 0x0
	s_barrier_signal -1
	s_barrier_wait -1
	global_inv scope:SCOPE_SE
	v_lshrrev_b32_e32 v0, 16, v0
	s_mov_b32 s50, 0x2a9d6da3
	s_mov_b32 s42, 0x4363dd80
	;; [unrolled: 1-line block ×4, first 2 shown]
	v_add_nc_u32_e32 v0, s4, v0
	s_mov_b32 s44, 0x5d8e7cdc
	s_mov_b32 s34, 0x75d4884
	;; [unrolled: 1-line block ×4, first 2 shown]
	v_mul_hi_u32 v1, 0x24924925, v0
	s_mov_b32 s35, 0x3fe7a5f6
	s_mov_b32 s19, 0xbfeb34fa
	;; [unrolled: 1-line block ×7, first 2 shown]
	v_sub_nc_u32_e32 v2, v0, v1
	s_mov_b32 s36, 0x370991
	s_mov_b32 s59, 0xbfeca52d
	s_mov_b32 s49, 0xbfefdd0d
	s_mov_b32 s39, 0xbfeec746
	v_lshrrev_b32_e32 v2, 1, v2
	s_mov_b32 s41, 0xbfe9895b
	s_mov_b32 s47, 0xbfc7851a
	;; [unrolled: 1-line block ×4, first 2 shown]
	v_add_nc_u32_e32 v1, v2, v1
	v_mul_hi_u32 v2, 0xf0f0f10, v255
	s_mov_b32 s28, 0x3259b75e
	s_mov_b32 s26, 0xc61f0d01
	;; [unrolled: 1-line block ×3, first 2 shown]
	v_lshrrev_b32_e32 v1, 2, v1
	s_mov_b32 s16, 0x7faef3
	s_mov_b32 s31, 0x3fdc86fa
	s_mov_b32 s29, 0x3fb79ee6
	s_mov_b32 s27, 0xbfd183b1
	v_mul_lo_u32 v1, v1, 7
	s_mov_b32 s25, 0xbfe348c8
	s_mov_b32 s17, 0xbfef7484
	;; [unrolled: 1-line block ×7, first 2 shown]
	v_sub_nc_u32_e32 v0, v0, v1
	v_mul_u32_u24_e32 v1, 17, v2
	s_mov_b32 s52, s58
	s_mov_b32 s55, 0x3fd71e95
	;; [unrolled: 1-line block ×3, first 2 shown]
	v_mul_u32_u24_e32 v0, 0x121, v0
	v_sub_nc_u32_e32 v254, v255, v1
	s_mov_b32 s69, 0x3fc7851a
	s_mov_b32 s68, s46
	;; [unrolled: 1-line block ×3, first 2 shown]
	v_lshlrev_b32_e32 v0, 4, v0
	v_lshlrev_b32_e32 v1, 4, v254
	s_mov_b32 s56, s50
	s_mov_b32 s65, 0x3fe9895b
	;; [unrolled: 1-line block ×3, first 2 shown]
	v_add_nc_u32_e32 v191, 0, v0
	v_add3_u32 v57, 0, v1, v0
	s_mov_b32 s61, 0x3fefdd0d
	s_mov_b32 s60, s48
	;; [unrolled: 1-line block ×3, first 2 shown]
	v_add_nc_u32_e32 v0, v191, v1
	ds_load_b128 v[5:8], v57 offset:272
	ds_load_b128 v[1:4], v0
	ds_load_b128 v[9:12], v57 offset:544
	ds_load_b128 v[13:16], v57 offset:816
	s_wait_dscnt 0x2
	v_add_f64_e32 v[19:20], v[3:4], v[7:8]
	v_add_f64_e32 v[17:18], v[1:2], v[5:6]
	s_wait_dscnt 0x1
	s_delay_alu instid0(VALU_DEP_2) | instskip(NEXT) | instid1(VALU_DEP_2)
	v_add_f64_e32 v[19:20], v[19:20], v[11:12]
	v_add_f64_e32 v[17:18], v[17:18], v[9:10]
	s_wait_dscnt 0x0
	s_delay_alu instid0(VALU_DEP_2) | instskip(NEXT) | instid1(VALU_DEP_2)
	v_add_f64_e32 v[27:28], v[19:20], v[15:16]
	v_add_f64_e32 v[25:26], v[17:18], v[13:14]
	ds_load_b128 v[17:20], v57 offset:1088
	ds_load_b128 v[21:24], v57 offset:1360
	s_wait_dscnt 0x1
	v_add_f64_e32 v[27:28], v[27:28], v[19:20]
	v_add_f64_e32 v[25:26], v[25:26], v[17:18]
	s_wait_dscnt 0x0
	s_delay_alu instid0(VALU_DEP_2) | instskip(NEXT) | instid1(VALU_DEP_2)
	v_add_f64_e32 v[35:36], v[27:28], v[23:24]
	v_add_f64_e32 v[33:34], v[25:26], v[21:22]
	ds_load_b128 v[25:28], v57 offset:1632
	ds_load_b128 v[29:32], v57 offset:1904
	s_wait_dscnt 0x1
	;; [unrolled: 9-line block ×3, first 2 shown]
	v_add_f64_e64 v[97:98], v[33:34], -v[37:38]
	v_add_f64_e64 v[99:100], v[35:36], -v[39:40]
	v_add_f64_e32 v[47:48], v[43:44], v[35:36]
	v_add_f64_e32 v[45:46], v[41:42], v[33:34]
	;; [unrolled: 1-line block ×4, first 2 shown]
	v_mul_f64_e32 v[141:142], s[54:55], v[97:98]
	v_mul_f64_e32 v[137:138], s[54:55], v[99:100]
	;; [unrolled: 1-line block ×6, first 2 shown]
	v_add_f64_e32 v[51:52], v[47:48], v[39:40]
	v_add_f64_e32 v[49:50], v[45:46], v[37:38]
	ds_load_b128 v[37:40], v57 offset:2720
	ds_load_b128 v[45:48], v57 offset:2992
	s_wait_dscnt 0x1
	v_add_f64_e32 v[35:36], v[31:32], v[39:40]
	v_add_f64_e64 v[103:104], v[31:32], -v[39:40]
	v_add_f64_e32 v[33:34], v[29:30], v[37:38]
	v_add_f64_e64 v[101:102], v[29:30], -v[37:38]
	s_wait_dscnt 0x0
	v_add_f64_e32 v[31:32], v[27:28], v[47:48]
	v_add_f64_e64 v[117:118], v[27:28], -v[47:48]
	v_add_f64_e32 v[29:30], v[25:26], v[45:46]
	v_add_f64_e64 v[107:108], v[25:26], -v[45:46]
	v_add_f64_e32 v[39:40], v[51:52], v[39:40]
	v_add_f64_e32 v[37:38], v[49:50], v[37:38]
	ds_load_b128 v[25:28], v57 offset:3264
	ds_load_b128 v[49:52], v57 offset:3536
	s_wait_dscnt 0x1
	v_add_f64_e64 v[135:136], v[23:24], -v[27:28]
	v_add_f64_e64 v[133:134], v[21:22], -v[25:26]
	s_wait_dscnt 0x0
	v_add_f64_e64 v[139:140], v[17:18], -v[49:50]
	v_add_f64_e64 v[143:144], v[19:20], -v[51:52]
	v_mul_f64_e32 v[129:130], s[52:53], v[103:104]
	v_mul_f64_e32 v[125:126], s[62:63], v[117:118]
	;; [unrolled: 1-line block ×12, first 2 shown]
	v_add_f64_e32 v[47:48], v[39:40], v[47:48]
	v_add_f64_e32 v[45:46], v[37:38], v[45:46]
	;; [unrolled: 1-line block ×4, first 2 shown]
	v_mul_f64_e32 v[121:122], s[66:67], v[135:136]
	v_mul_f64_e32 v[123:124], s[66:67], v[133:134]
	;; [unrolled: 1-line block ×10, first 2 shown]
	v_add_f64_e32 v[23:24], v[47:48], v[27:28]
	v_add_f64_e32 v[21:22], v[45:46], v[25:26]
	v_add_f64_e32 v[45:46], v[17:18], v[49:50]
	v_add_f64_e32 v[47:48], v[19:20], v[51:52]
	s_delay_alu instid0(VALU_DEP_4) | instskip(NEXT) | instid1(VALU_DEP_4)
	v_add_f64_e32 v[27:28], v[23:24], v[51:52]
	v_add_f64_e32 v[25:26], v[21:22], v[49:50]
	ds_load_b128 v[17:20], v57 offset:3808
	ds_load_b128 v[21:24], v57 offset:4080
	s_wait_dscnt 0x1
	v_add_f64_e32 v[51:52], v[15:16], v[19:20]
	v_add_f64_e64 v[147:148], v[15:16], -v[19:20]
	s_wait_dscnt 0x0
	v_add_f64_e32 v[53:54], v[9:10], v[21:22]
	v_add_f64_e32 v[55:56], v[11:12], v[23:24]
	v_add_f64_e64 v[149:150], v[9:10], -v[21:22]
	v_add_f64_e64 v[155:156], v[11:12], -v[23:24]
	ds_load_b128 v[9:12], v57 offset:4352
	v_add_f64_e32 v[49:50], v[13:14], v[17:18]
	v_add_f64_e64 v[145:146], v[13:14], -v[17:18]
	v_add_f64_e32 v[15:16], v[27:28], v[19:20]
	v_add_f64_e32 v[13:14], v[25:26], v[17:18]
	s_wait_dscnt 0x0
	v_add_f64_e64 v[17:18], v[7:8], -v[11:12]
	v_add_f64_e32 v[19:20], v[5:6], v[9:10]
	v_mul_f64_e32 v[226:227], s[62:63], v[147:148]
	v_mul_f64_e32 v[224:225], s[46:47], v[149:150]
	;; [unrolled: 1-line block ×6, first 2 shown]
	v_add_f64_e32 v[15:16], v[15:16], v[23:24]
	v_add_f64_e32 v[13:14], v[13:14], v[21:22]
	;; [unrolled: 1-line block ×3, first 2 shown]
	v_add_f64_e64 v[23:24], v[5:6], -v[9:10]
	v_mul_f64_e32 v[59:60], s[42:43], v[17:18]
	v_mul_f64_e32 v[25:26], s[38:39], v[17:18]
	;; [unrolled: 1-line block ×3, first 2 shown]
	v_add_f64_e32 v[7:8], v[15:16], v[11:12]
	v_mul_f64_e32 v[11:12], s[50:51], v[17:18]
	v_add_f64_e32 v[5:6], v[13:14], v[9:10]
	v_mul_f64_e32 v[9:10], s[44:45], v[17:18]
	v_mul_f64_e32 v[13:14], s[58:59], v[17:18]
	;; [unrolled: 1-line block ×6, first 2 shown]
	s_wait_alu 0xfffe
	v_fma_f64 v[75:76], v[19:20], s[18:19], -v[59:60]
	v_fma_f64 v[77:78], v[19:20], s[18:19], v[59:60]
	v_mul_f64_e32 v[59:60], s[50:51], v[23:24]
	v_fma_f64 v[71:72], v[19:20], s[26:27], -v[25:26]
	v_fma_f64 v[25:26], v[19:20], s[26:27], v[25:26]
	v_fma_f64 v[73:74], v[19:20], s[24:25], -v[27:28]
	v_fma_f64 v[27:28], v[19:20], s[24:25], v[27:28]
	v_mul_f64_e32 v[83:84], s[38:39], v[23:24]
	v_mul_f64_e32 v[85:86], s[40:41], v[23:24]
	;; [unrolled: 1-line block ×3, first 2 shown]
	v_fma_f64 v[63:64], v[19:20], s[34:35], -v[11:12]
	v_fma_f64 v[11:12], v[19:20], s[34:35], v[11:12]
	v_fma_f64 v[61:62], v[19:20], s[36:37], -v[9:10]
	v_fma_f64 v[9:10], v[19:20], s[36:37], v[9:10]
	;; [unrolled: 2-line block ×5, first 2 shown]
	v_fma_f64 v[93:94], v[21:22], s[34:35], -v[59:60]
	v_mul_f64_e32 v[19:20], s[44:45], v[23:24]
	v_fma_f64 v[105:106], v[21:22], s[30:31], -v[65:66]
	v_mul_f64_e32 v[23:24], s[46:47], v[23:24]
	v_fma_f64 v[109:110], v[21:22], s[28:29], v[81:82]
	v_fma_f64 v[81:82], v[21:22], s[28:29], -v[81:82]
	v_fma_f64 v[91:92], v[21:22], s[34:35], v[59:60]
	v_fma_f64 v[95:96], v[21:22], s[30:31], v[65:66]
	v_fma_f64 v[111:112], v[21:22], s[26:27], v[83:84]
	v_fma_f64 v[83:84], v[21:22], s[26:27], -v[83:84]
	v_fma_f64 v[113:114], v[21:22], s[24:25], v[85:86]
	v_fma_f64 v[85:86], v[21:22], s[24:25], -v[85:86]
	v_fma_f64 v[115:116], v[21:22], s[18:19], v[87:88]
	v_fma_f64 v[87:88], v[21:22], s[18:19], -v[87:88]
	v_add_f64_e32 v[196:197], v[1:2], v[71:72]
	v_add_f64_e32 v[25:26], v[1:2], v[25:26]
	;; [unrolled: 1-line block ×6, first 2 shown]
	v_mul_f64_e32 v[71:72], s[58:59], v[145:146]
	v_mul_f64_e32 v[73:74], s[48:49], v[143:144]
	;; [unrolled: 1-line block ×5, first 2 shown]
	v_add_f64_e32 v[11:12], v[1:2], v[11:12]
	v_add_f64_e32 v[9:10], v[1:2], v[9:10]
	;; [unrolled: 1-line block ×3, first 2 shown]
	v_mul_f64_e32 v[67:68], s[50:51], v[149:150]
	v_add_f64_e32 v[192:193], v[1:2], v[69:70]
	v_mul_f64_e32 v[69:70], s[58:59], v[147:148]
	v_add_f64_e32 v[218:219], v[1:2], v[79:80]
	v_add_f64_e32 v[187:188], v[1:2], v[17:18]
	v_mul_f64_e32 v[79:80], s[38:39], v[133:134]
	v_fma_f64 v[89:90], v[21:22], s[36:37], v[19:20]
	v_fma_f64 v[19:20], v[21:22], s[36:37], -v[19:20]
	v_fma_f64 v[119:120], v[21:22], s[16:17], v[23:24]
	v_fma_f64 v[21:22], v[21:22], s[16:17], -v[23:24]
	v_add_f64_e32 v[23:24], v[1:2], v[61:62]
	v_add_f64_e32 v[194:195], v[3:4], v[109:110]
	v_add_f64_e32 v[161:162], v[3:4], v[95:96]
	v_add_f64_e32 v[198:199], v[3:4], v[111:112]
	v_add_f64_e32 v[200:201], v[3:4], v[83:84]
	v_add_f64_e32 v[204:205], v[3:4], v[113:114]
	v_add_f64_e32 v[208:209], v[3:4], v[85:86]
	v_add_f64_e32 v[212:213], v[3:4], v[115:116]
	v_add_f64_e32 v[216:217], v[3:4], v[87:88]
	v_mul_f64_e32 v[83:84], s[40:41], v[107:108]
	v_mul_f64_e32 v[85:86], s[42:43], v[103:104]
	;; [unrolled: 1-line block ×7, first 2 shown]
	scratch_store_b64 off, v[11:12], off offset:24 ; 8-byte Folded Spill
	v_add_f64_e32 v[11:12], v[3:4], v[93:94]
	scratch_store_b64 off, v[9:10], off     ; 8-byte Folded Spill
	v_add_f64_e32 v[89:90], v[3:4], v[89:90]
	v_add_f64_e32 v[9:10], v[3:4], v[19:20]
	;; [unrolled: 1-line block ×5, first 2 shown]
	v_mul_f64_e32 v[91:92], s[46:47], v[97:98]
	v_mul_f64_e32 v[119:120], s[46:47], v[139:140]
	v_fma_f64 v[21:22], v[49:50], s[26:27], -v[226:227]
	scratch_store_b64 off, v[11:12], off offset:16 ; 8-byte Folded Spill
	v_add_f64_e32 v[11:12], v[1:2], v[13:14]
	v_fma_f64 v[13:14], v[49:50], s[24:25], -v[111:112]
	scratch_store_b64 off, v[11:12], off offset:40 ; 8-byte Folded Spill
	v_add_f64_e32 v[11:12], v[3:4], v[105:106]
	scratch_store_b64 off, v[9:10], off offset:8 ; 8-byte Folded Spill
	v_add_f64_e32 v[9:10], v[1:2], v[63:64]
	v_mul_f64_e32 v[63:64], s[50:51], v[155:156]
	v_mul_f64_e32 v[105:106], s[48:49], v[155:156]
	scratch_store_b64 off, v[11:12], off offset:32 ; 8-byte Folded Spill
	v_add_f64_e32 v[11:12], v[1:2], v[15:16]
	v_fma_f64 v[1:2], v[53:54], s[34:35], -v[63:64]
	scratch_store_b64 off, v[11:12], off offset:56 ; 8-byte Folded Spill
	v_add_f64_e32 v[11:12], v[3:4], v[81:82]
	v_add_f64_e32 v[1:2], v[1:2], v[23:24]
	v_fma_f64 v[3:4], v[55:56], s[34:35], v[67:68]
	v_mul_f64_e32 v[81:82], s[40:41], v[117:118]
	scratch_store_b64 off, v[11:12], off offset:48 ; 8-byte Folded Spill
	v_fma_f64 v[11:12], v[49:50], s[30:31], -v[69:70]
	v_add_f64_e32 v[3:4], v[3:4], v[89:90]
	v_mul_f64_e32 v[89:90], s[46:47], v[99:100]
	s_delay_alu instid0(VALU_DEP_3) | instskip(SKIP_1) | instid1(VALU_DEP_1)
	v_add_f64_e32 v[1:2], v[11:12], v[1:2]
	v_fma_f64 v[11:12], v[51:52], s[30:31], v[71:72]
	v_add_f64_e32 v[3:4], v[11:12], v[3:4]
	v_fma_f64 v[11:12], v[45:46], s[28:29], -v[73:74]
	s_delay_alu instid0(VALU_DEP_1) | instskip(SKIP_1) | instid1(VALU_DEP_1)
	v_add_f64_e32 v[1:2], v[11:12], v[1:2]
	v_fma_f64 v[11:12], v[47:48], s[28:29], v[75:76]
	v_add_f64_e32 v[3:4], v[11:12], v[3:4]
	v_fma_f64 v[11:12], v[37:38], s[26:27], -v[77:78]
	s_delay_alu instid0(VALU_DEP_1) | instskip(SKIP_1) | instid1(VALU_DEP_1)
	;; [unrolled: 5-line block ×5, first 2 shown]
	v_add_f64_e32 v[1:2], v[11:12], v[1:2]
	v_fma_f64 v[11:12], v[43:44], s[16:17], v[91:92]
	v_add_f64_e32 v[3:4], v[11:12], v[3:4]
	v_fma_f64 v[11:12], v[53:54], s[28:29], -v[105:106]
	s_delay_alu instid0(VALU_DEP_1) | instskip(SKIP_1) | instid1(VALU_DEP_2)
	v_add_f64_e32 v[9:10], v[11:12], v[9:10]
	v_fma_f64 v[11:12], v[55:56], s[28:29], v[109:110]
	v_add_f64_e32 v[9:10], v[13:14], v[9:10]
	s_delay_alu instid0(VALU_DEP_2) | instskip(SKIP_2) | instid1(VALU_DEP_2)
	v_add_f64_e32 v[11:12], v[11:12], v[19:20]
	v_fma_f64 v[13:14], v[51:52], s[24:25], v[113:114]
	v_fma_f64 v[19:20], v[55:56], s[16:17], v[224:225]
	v_add_f64_e32 v[11:12], v[13:14], v[11:12]
	v_fma_f64 v[13:14], v[45:46], s[16:17], -v[115:116]
	s_delay_alu instid0(VALU_DEP_3) | instskip(SKIP_1) | instid1(VALU_DEP_3)
	v_add_f64_e32 v[19:20], v[19:20], v[194:195]
	v_mul_f64_e32 v[194:195], s[56:57], v[147:148]
	v_add_f64_e32 v[9:10], v[13:14], v[9:10]
	v_fma_f64 v[13:14], v[47:48], s[16:17], v[119:120]
	s_delay_alu instid0(VALU_DEP_1) | instskip(SKIP_1) | instid1(VALU_DEP_1)
	v_add_f64_e32 v[11:12], v[13:14], v[11:12]
	v_fma_f64 v[13:14], v[37:38], s[18:19], -v[121:122]
	v_add_f64_e32 v[9:10], v[13:14], v[9:10]
	v_fma_f64 v[13:14], v[39:40], s[18:19], v[123:124]
	s_delay_alu instid0(VALU_DEP_1) | instskip(SKIP_1) | instid1(VALU_DEP_1)
	v_add_f64_e32 v[11:12], v[13:14], v[11:12]
	v_fma_f64 v[13:14], v[29:30], s[26:27], -v[125:126]
	;; [unrolled: 5-line block ×5, first 2 shown]
	v_add_f64_e32 v[13:14], v[13:14], v[159:160]
	v_mul_f64_e32 v[159:160], s[40:41], v[149:150]
	s_delay_alu instid0(VALU_DEP_1) | instskip(NEXT) | instid1(VALU_DEP_1)
	v_fma_f64 v[15:16], v[55:56], s[24:25], v[159:160]
	v_add_f64_e32 v[15:16], v[15:16], v[161:162]
	v_mul_f64_e32 v[161:162], s[68:69], v[147:148]
	s_delay_alu instid0(VALU_DEP_1) | instskip(NEXT) | instid1(VALU_DEP_1)
	v_fma_f64 v[17:18], v[49:50], s[16:17], -v[161:162]
	v_add_f64_e32 v[13:14], v[17:18], v[13:14]
	v_fma_f64 v[17:18], v[51:52], s[16:17], v[163:164]
	s_delay_alu instid0(VALU_DEP_1) | instskip(SKIP_1) | instid1(VALU_DEP_1)
	v_add_f64_e32 v[15:16], v[17:18], v[15:16]
	v_fma_f64 v[17:18], v[45:46], s[26:27], -v[165:166]
	v_add_f64_e32 v[13:14], v[17:18], v[13:14]
	v_fma_f64 v[17:18], v[47:48], s[26:27], v[167:168]
	s_delay_alu instid0(VALU_DEP_1) | instskip(SKIP_1) | instid1(VALU_DEP_1)
	v_add_f64_e32 v[15:16], v[17:18], v[15:16]
	;; [unrolled: 5-line block ×6, first 2 shown]
	v_fma_f64 v[17:18], v[53:54], s[16:17], -v[222:223]
	v_add_f64_e32 v[17:18], v[17:18], v[192:193]
	v_mul_f64_e32 v[192:193], s[66:67], v[149:150]
	s_delay_alu instid0(VALU_DEP_2) | instskip(SKIP_1) | instid1(VALU_DEP_3)
	v_add_f64_e32 v[17:18], v[21:22], v[17:18]
	v_fma_f64 v[21:22], v[51:52], s[26:27], v[228:229]
	v_fma_f64 v[23:24], v[55:56], s[18:19], v[192:193]
	s_delay_alu instid0(VALU_DEP_2) | instskip(SKIP_1) | instid1(VALU_DEP_3)
	v_add_f64_e32 v[19:20], v[21:22], v[19:20]
	v_fma_f64 v[21:22], v[45:46], s[36:37], -v[230:231]
	v_add_f64_e32 v[23:24], v[23:24], v[198:199]
	s_delay_alu instid0(VALU_DEP_2) | instskip(SKIP_1) | instid1(VALU_DEP_1)
	v_add_f64_e32 v[17:18], v[21:22], v[17:18]
	v_fma_f64 v[21:22], v[47:48], s[36:37], v[232:233]
	v_add_f64_e32 v[19:20], v[21:22], v[19:20]
	v_fma_f64 v[21:22], v[37:38], s[30:31], -v[234:235]
	s_delay_alu instid0(VALU_DEP_1) | instskip(SKIP_1) | instid1(VALU_DEP_1)
	v_add_f64_e32 v[17:18], v[21:22], v[17:18]
	v_fma_f64 v[21:22], v[39:40], s[30:31], v[236:237]
	v_add_f64_e32 v[19:20], v[21:22], v[19:20]
	v_fma_f64 v[21:22], v[29:30], s[18:19], -v[238:239]
	s_delay_alu instid0(VALU_DEP_1) | instskip(SKIP_1) | instid1(VALU_DEP_1)
	;; [unrolled: 5-line block ×4, first 2 shown]
	v_add_f64_e32 v[17:18], v[21:22], v[17:18]
	v_fma_f64 v[21:22], v[43:44], s[34:35], v[248:249]
	v_add_f64_e32 v[19:20], v[21:22], v[19:20]
	v_fma_f64 v[21:22], v[53:54], s[18:19], -v[27:28]
	v_fma_f64 v[27:28], v[53:54], s[18:19], v[27:28]
	s_delay_alu instid0(VALU_DEP_2) | instskip(SKIP_1) | instid1(VALU_DEP_3)
	v_add_f64_e32 v[21:22], v[21:22], v[196:197]
	v_fma_f64 v[196:197], v[49:50], s[34:35], -v[194:195]
	v_add_f64_e32 v[25:26], v[27:28], v[25:26]
	v_fma_f64 v[27:28], v[55:56], s[18:19], -v[192:193]
	s_delay_alu instid0(VALU_DEP_3) | instskip(SKIP_1) | instid1(VALU_DEP_3)
	v_add_f64_e32 v[21:22], v[196:197], v[21:22]
	v_mul_f64_e32 v[196:197], s[56:57], v[145:146]
	v_add_f64_e32 v[27:28], v[27:28], v[200:201]
	v_mul_f64_e32 v[200:201], s[50:51], v[117:118]
	s_delay_alu instid0(VALU_DEP_3) | instskip(NEXT) | instid1(VALU_DEP_1)
	v_fma_f64 v[198:199], v[51:52], s[34:35], v[196:197]
	v_add_f64_e32 v[23:24], v[198:199], v[23:24]
	v_mul_f64_e32 v[198:199], s[58:59], v[143:144]
	s_delay_alu instid0(VALU_DEP_1) | instskip(NEXT) | instid1(VALU_DEP_1)
	v_fma_f64 v[250:251], v[45:46], s[30:31], -v[198:199]
	v_add_f64_e32 v[21:22], v[250:251], v[21:22]
	v_mul_f64_e32 v[250:251], s[58:59], v[139:140]
	s_delay_alu instid0(VALU_DEP_1) | instskip(NEXT) | instid1(VALU_DEP_1)
	v_fma_f64 v[252:253], v[47:48], s[30:31], v[250:251]
	v_add_f64_e32 v[23:24], v[252:253], v[23:24]
	v_mul_f64_e32 v[252:253], s[46:47], v[135:136]
	s_delay_alu instid0(VALU_DEP_1) | instskip(NEXT) | instid1(VALU_DEP_1)
	v_fma_f64 v[58:59], v[37:38], s[16:17], -v[252:253]
	v_add_f64_e32 v[21:22], v[58:59], v[21:22]
	v_mul_f64_e32 v[58:59], s[46:47], v[133:134]
	s_delay_alu instid0(VALU_DEP_1) | instskip(SKIP_1) | instid1(VALU_DEP_2)
	v_fma_f64 v[189:190], v[39:40], s[16:17], v[58:59]
	v_fma_f64 v[58:59], v[39:40], s[16:17], -v[58:59]
	v_add_f64_e32 v[23:24], v[189:190], v[23:24]
	v_mul_f64_e32 v[189:190], s[60:61], v[117:118]
	s_delay_alu instid0(VALU_DEP_1) | instskip(NEXT) | instid1(VALU_DEP_1)
	v_fma_f64 v[60:61], v[29:30], s[28:29], -v[189:190]
	v_add_f64_e32 v[21:22], v[60:61], v[21:22]
	v_mul_f64_e32 v[60:61], s[60:61], v[107:108]
	s_delay_alu instid0(VALU_DEP_1) | instskip(NEXT) | instid1(VALU_DEP_1)
	v_fma_f64 v[65:66], v[31:32], s[28:29], v[60:61]
	v_add_f64_e32 v[23:24], v[65:66], v[23:24]
	v_mul_f64_e32 v[65:66], s[44:45], v[103:104]
	s_delay_alu instid0(VALU_DEP_1) | instskip(NEXT) | instid1(VALU_DEP_1)
	v_fma_f64 v[93:94], v[33:34], s[36:37], -v[65:66]
	v_add_f64_e32 v[21:22], v[93:94], v[21:22]
	v_mul_f64_e32 v[93:94], s[44:45], v[101:102]
	s_delay_alu instid0(VALU_DEP_1) | instskip(NEXT) | instid1(VALU_DEP_1)
	v_fma_f64 v[95:96], v[35:36], s[36:37], v[93:94]
	;; [unrolled: 8-line block ×3, first 2 shown]
	v_add_f64_e32 v[23:24], v[153:154], v[23:24]
	v_fma_f64 v[153:154], v[49:50], s[34:35], v[194:195]
	s_delay_alu instid0(VALU_DEP_1) | instskip(SKIP_2) | instid1(VALU_DEP_2)
	v_add_f64_e32 v[25:26], v[153:154], v[25:26]
	v_fma_f64 v[153:154], v[51:52], s[34:35], -v[196:197]
	v_mul_f64_e32 v[196:197], s[60:61], v[135:136]
	v_add_f64_e32 v[27:28], v[153:154], v[27:28]
	v_fma_f64 v[153:154], v[45:46], s[30:31], v[198:199]
	v_mul_f64_e32 v[198:199], s[60:61], v[133:134]
	s_delay_alu instid0(VALU_DEP_2) | instskip(SKIP_2) | instid1(VALU_DEP_2)
	v_add_f64_e32 v[25:26], v[153:154], v[25:26]
	v_fma_f64 v[153:154], v[47:48], s[30:31], -v[250:251]
	v_mul_f64_e32 v[250:251], s[46:47], v[101:102]
	v_add_f64_e32 v[27:28], v[153:154], v[27:28]
	v_fma_f64 v[153:154], v[37:38], s[16:17], v[252:253]
	v_mul_f64_e32 v[252:253], s[52:53], v[99:100]
	s_delay_alu instid0(VALU_DEP_3) | instskip(NEXT) | instid1(VALU_DEP_3)
	v_add_f64_e32 v[27:28], v[58:59], v[27:28]
	v_add_f64_e32 v[25:26], v[153:154], v[25:26]
	v_fma_f64 v[58:59], v[29:30], s[28:29], v[189:190]
	s_delay_alu instid0(VALU_DEP_1) | instskip(SKIP_2) | instid1(VALU_DEP_2)
	v_add_f64_e32 v[25:26], v[58:59], v[25:26]
	v_fma_f64 v[58:59], v[31:32], s[28:29], -v[60:61]
	v_fma_f64 v[60:61], v[43:44], s[24:25], -v[151:152]
	v_add_f64_e32 v[27:28], v[58:59], v[27:28]
	v_fma_f64 v[58:59], v[33:34], s[36:37], v[65:66]
	v_mul_f64_e32 v[65:66], s[62:63], v[149:150]
	s_delay_alu instid0(VALU_DEP_2) | instskip(SKIP_1) | instid1(VALU_DEP_3)
	v_add_f64_e32 v[25:26], v[58:59], v[25:26]
	v_fma_f64 v[58:59], v[35:36], s[36:37], -v[93:94]
	v_fma_f64 v[93:94], v[55:56], s[26:27], v[65:66]
	v_fma_f64 v[65:66], v[55:56], s[26:27], -v[65:66]
	s_delay_alu instid0(VALU_DEP_3)
	v_add_f64_e32 v[27:28], v[58:59], v[27:28]
	v_fma_f64 v[58:59], v[41:42], s[24:25], v[95:96]
	v_mul_f64_e32 v[95:96], s[44:45], v[147:148]
	v_add_f64_e32 v[93:94], v[93:94], v[204:205]
	v_mul_f64_e32 v[204:205], s[46:47], v[103:104]
	v_add_f64_e32 v[65:66], v[65:66], v[208:209]
	v_mul_f64_e32 v[208:209], s[46:47], v[117:118]
	v_mul_f64_e32 v[117:118], s[52:53], v[117:118]
	v_add_f64_e32 v[27:28], v[60:61], v[27:28]
	v_add_f64_e32 v[25:26], v[58:59], v[25:26]
	v_mul_f64_e32 v[58:59], s[62:63], v[155:156]
	v_fma_f64 v[151:152], v[49:50], s[36:37], -v[95:96]
	s_delay_alu instid0(VALU_DEP_2) | instskip(SKIP_1) | instid1(VALU_DEP_2)
	v_fma_f64 v[60:61], v[53:54], s[26:27], -v[58:59]
	v_fma_f64 v[58:59], v[53:54], s[26:27], v[58:59]
	v_add_f64_e32 v[60:61], v[60:61], v[202:203]
	v_mul_f64_e32 v[202:203], s[50:51], v[107:108]
	s_delay_alu instid0(VALU_DEP_3) | instskip(SKIP_4) | instid1(VALU_DEP_1)
	v_add_f64_e32 v[58:59], v[58:59], v[206:207]
	v_mul_f64_e32 v[206:207], s[44:45], v[133:134]
	v_mul_f64_e32 v[133:134], s[40:41], v[133:134]
	v_add_f64_e32 v[60:61], v[151:152], v[60:61]
	v_mul_f64_e32 v[151:152], s[44:45], v[145:146]
	v_fma_f64 v[153:154], v[51:52], s[36:37], v[151:152]
	s_delay_alu instid0(VALU_DEP_1) | instskip(SKIP_1) | instid1(VALU_DEP_1)
	v_add_f64_e32 v[93:94], v[153:154], v[93:94]
	v_mul_f64_e32 v[153:154], s[42:43], v[143:144]
	v_fma_f64 v[189:190], v[45:46], s[18:19], -v[153:154]
	s_delay_alu instid0(VALU_DEP_1) | instskip(SKIP_1) | instid1(VALU_DEP_1)
	v_add_f64_e32 v[60:61], v[189:190], v[60:61]
	v_mul_f64_e32 v[189:190], s[42:43], v[139:140]
	v_fma_f64 v[192:193], v[47:48], s[18:19], v[189:190]
	s_delay_alu instid0(VALU_DEP_1) | instskip(SKIP_1) | instid1(VALU_DEP_1)
	v_add_f64_e32 v[93:94], v[192:193], v[93:94]
	v_fma_f64 v[192:193], v[37:38], s[28:29], -v[196:197]
	v_add_f64_e32 v[60:61], v[192:193], v[60:61]
	v_fma_f64 v[192:193], v[39:40], s[28:29], v[198:199]
	s_delay_alu instid0(VALU_DEP_1) | instskip(SKIP_1) | instid1(VALU_DEP_1)
	v_add_f64_e32 v[93:94], v[192:193], v[93:94]
	v_fma_f64 v[192:193], v[29:30], s[34:35], -v[200:201]
	v_add_f64_e32 v[60:61], v[192:193], v[60:61]
	;; [unrolled: 5-line block ×4, first 2 shown]
	v_mul_f64_e32 v[60:61], s[52:53], v[97:98]
	s_delay_alu instid0(VALU_DEP_1) | instskip(SKIP_1) | instid1(VALU_DEP_2)
	v_fma_f64 v[194:195], v[43:44], s[30:31], v[60:61]
	v_fma_f64 v[60:61], v[43:44], s[30:31], -v[60:61]
	v_add_f64_e32 v[194:195], v[194:195], v[93:94]
	v_fma_f64 v[93:94], v[49:50], s[36:37], v[95:96]
	v_mul_f64_e32 v[95:96], s[48:49], v[147:148]
	s_delay_alu instid0(VALU_DEP_2) | instskip(SKIP_1) | instid1(VALU_DEP_3)
	v_add_f64_e32 v[58:59], v[93:94], v[58:59]
	v_fma_f64 v[93:94], v[51:52], s[36:37], -v[151:152]
	v_fma_f64 v[151:152], v[49:50], s[28:29], -v[95:96]
	s_delay_alu instid0(VALU_DEP_2) | instskip(SKIP_1) | instid1(VALU_DEP_1)
	v_add_f64_e32 v[65:66], v[93:94], v[65:66]
	v_fma_f64 v[93:94], v[45:46], s[18:19], v[153:154]
	v_add_f64_e32 v[58:59], v[93:94], v[58:59]
	v_fma_f64 v[93:94], v[47:48], s[18:19], -v[189:190]
	s_delay_alu instid0(VALU_DEP_1) | instskip(SKIP_1) | instid1(VALU_DEP_1)
	v_add_f64_e32 v[65:66], v[93:94], v[65:66]
	v_fma_f64 v[93:94], v[37:38], s[28:29], v[196:197]
	v_add_f64_e32 v[58:59], v[93:94], v[58:59]
	v_fma_f64 v[93:94], v[39:40], s[28:29], -v[198:199]
	s_delay_alu instid0(VALU_DEP_1) | instskip(SKIP_1) | instid1(VALU_DEP_1)
	v_add_f64_e32 v[65:66], v[93:94], v[65:66]
	v_fma_f64 v[93:94], v[29:30], s[34:35], v[200:201]
	v_add_f64_e32 v[58:59], v[93:94], v[58:59]
	v_fma_f64 v[93:94], v[31:32], s[34:35], -v[202:203]
	s_delay_alu instid0(VALU_DEP_1) | instskip(SKIP_3) | instid1(VALU_DEP_3)
	v_add_f64_e32 v[65:66], v[93:94], v[65:66]
	v_fma_f64 v[93:94], v[33:34], s[16:17], v[204:205]
	v_mul_f64_e32 v[204:205], s[44:45], v[135:136]
	v_mul_f64_e32 v[135:136], s[40:41], v[135:136]
	v_add_f64_e32 v[58:59], v[93:94], v[58:59]
	v_fma_f64 v[93:94], v[35:36], s[16:17], -v[250:251]
	v_mul_f64_e32 v[250:251], s[56:57], v[101:102]
	v_mul_f64_e32 v[101:102], s[38:39], v[101:102]
	s_delay_alu instid0(VALU_DEP_3) | instskip(SKIP_2) | instid1(VALU_DEP_3)
	v_add_f64_e32 v[65:66], v[93:94], v[65:66]
	v_fma_f64 v[93:94], v[41:42], s[30:31], v[252:253]
	v_mul_f64_e32 v[252:253], s[38:39], v[99:100]
	v_add_f64_e32 v[198:199], v[60:61], v[65:66]
	s_delay_alu instid0(VALU_DEP_3) | instskip(SKIP_2) | instid1(VALU_DEP_2)
	v_add_f64_e32 v[196:197], v[93:94], v[58:59]
	v_mul_f64_e32 v[58:59], s[52:53], v[155:156]
	v_mul_f64_e32 v[65:66], s[52:53], v[149:150]
	v_fma_f64 v[60:61], v[53:54], s[30:31], -v[58:59]
	s_delay_alu instid0(VALU_DEP_2) | instskip(SKIP_2) | instid1(VALU_DEP_4)
	v_fma_f64 v[93:94], v[55:56], s[30:31], v[65:66]
	v_fma_f64 v[58:59], v[53:54], s[30:31], v[58:59]
	v_fma_f64 v[65:66], v[55:56], s[30:31], -v[65:66]
	v_add_f64_e32 v[60:61], v[60:61], v[210:211]
	s_delay_alu instid0(VALU_DEP_4)
	v_add_f64_e32 v[93:94], v[93:94], v[212:213]
	v_mul_f64_e32 v[210:211], s[46:47], v[107:108]
	v_mul_f64_e32 v[212:213], s[56:57], v[103:104]
	v_add_f64_e32 v[58:59], v[58:59], v[214:215]
	v_add_f64_e32 v[65:66], v[65:66], v[216:217]
	v_mul_f64_e32 v[107:108], s[52:53], v[107:108]
	v_mul_f64_e32 v[103:104], s[38:39], v[103:104]
	v_add_f64_e32 v[60:61], v[151:152], v[60:61]
	v_mul_f64_e32 v[151:152], s[48:49], v[145:146]
	v_mul_f64_e32 v[145:146], s[42:43], v[145:146]
	s_delay_alu instid0(VALU_DEP_2) | instskip(NEXT) | instid1(VALU_DEP_1)
	v_fma_f64 v[153:154], v[51:52], s[28:29], v[151:152]
	v_add_f64_e32 v[93:94], v[153:154], v[93:94]
	v_mul_f64_e32 v[153:154], s[64:65], v[143:144]
	v_mul_f64_e32 v[143:144], s[56:57], v[143:144]
	s_delay_alu instid0(VALU_DEP_2) | instskip(NEXT) | instid1(VALU_DEP_1)
	v_fma_f64 v[189:190], v[45:46], s[24:25], -v[153:154]
	v_add_f64_e32 v[60:61], v[189:190], v[60:61]
	v_mul_f64_e32 v[189:190], s[64:65], v[139:140]
	v_mul_f64_e32 v[139:140], s[56:57], v[139:140]
	s_delay_alu instid0(VALU_DEP_2) | instskip(NEXT) | instid1(VALU_DEP_1)
	v_fma_f64 v[200:201], v[47:48], s[24:25], v[189:190]
	v_add_f64_e32 v[93:94], v[200:201], v[93:94]
	v_fma_f64 v[200:201], v[37:38], s[36:37], -v[204:205]
	s_delay_alu instid0(VALU_DEP_1) | instskip(SKIP_1) | instid1(VALU_DEP_1)
	v_add_f64_e32 v[60:61], v[200:201], v[60:61]
	v_fma_f64 v[200:201], v[39:40], s[36:37], v[206:207]
	v_add_f64_e32 v[93:94], v[200:201], v[93:94]
	v_fma_f64 v[200:201], v[29:30], s[16:17], -v[208:209]
	s_delay_alu instid0(VALU_DEP_1) | instskip(SKIP_1) | instid1(VALU_DEP_1)
	v_add_f64_e32 v[60:61], v[200:201], v[60:61]
	;; [unrolled: 5-line block ×4, first 2 shown]
	v_mul_f64_e32 v[60:61], s[38:39], v[97:98]
	v_fma_f64 v[202:203], v[43:44], s[26:27], v[60:61]
	v_fma_f64 v[60:61], v[43:44], s[26:27], -v[60:61]
	s_delay_alu instid0(VALU_DEP_2) | instskip(SKIP_2) | instid1(VALU_DEP_2)
	v_add_f64_e32 v[202:203], v[202:203], v[93:94]
	v_fma_f64 v[93:94], v[49:50], s[28:29], v[95:96]
	v_mul_f64_e32 v[95:96], s[42:43], v[147:148]
	v_add_f64_e32 v[58:59], v[93:94], v[58:59]
	v_fma_f64 v[93:94], v[51:52], s[28:29], -v[151:152]
	s_delay_alu instid0(VALU_DEP_3) | instskip(NEXT) | instid1(VALU_DEP_2)
	v_fma_f64 v[147:148], v[49:50], s[18:19], -v[95:96]
	v_add_f64_e32 v[65:66], v[93:94], v[65:66]
	v_fma_f64 v[93:94], v[45:46], s[24:25], v[153:154]
	s_delay_alu instid0(VALU_DEP_1) | instskip(SKIP_1) | instid1(VALU_DEP_1)
	v_add_f64_e32 v[58:59], v[93:94], v[58:59]
	v_fma_f64 v[93:94], v[47:48], s[24:25], -v[189:190]
	v_add_f64_e32 v[65:66], v[93:94], v[65:66]
	v_fma_f64 v[93:94], v[37:38], s[36:37], v[204:205]
	s_delay_alu instid0(VALU_DEP_1) | instskip(SKIP_1) | instid1(VALU_DEP_1)
	v_add_f64_e32 v[58:59], v[93:94], v[58:59]
	v_fma_f64 v[93:94], v[39:40], s[36:37], -v[206:207]
	v_add_f64_e32 v[65:66], v[93:94], v[65:66]
	v_fma_f64 v[93:94], v[29:30], s[16:17], v[208:209]
	s_delay_alu instid0(VALU_DEP_1) | instskip(SKIP_1) | instid1(VALU_DEP_1)
	v_add_f64_e32 v[58:59], v[93:94], v[58:59]
	v_fma_f64 v[93:94], v[31:32], s[16:17], -v[210:211]
	v_add_f64_e32 v[65:66], v[93:94], v[65:66]
	v_fma_f64 v[93:94], v[33:34], s[34:35], v[212:213]
	s_delay_alu instid0(VALU_DEP_1) | instskip(SKIP_1) | instid1(VALU_DEP_1)
	v_add_f64_e32 v[58:59], v[93:94], v[58:59]
	v_fma_f64 v[93:94], v[35:36], s[34:35], -v[250:251]
	v_add_f64_e32 v[65:66], v[93:94], v[65:66]
	v_fma_f64 v[93:94], v[41:42], s[26:27], v[252:253]
	s_delay_alu instid0(VALU_DEP_2) | instskip(NEXT) | instid1(VALU_DEP_2)
	v_add_f64_e32 v[206:207], v[60:61], v[65:66]
	v_add_f64_e32 v[204:205], v[93:94], v[58:59]
	v_mul_f64_e32 v[58:59], s[54:55], v[155:156]
	v_mul_f64_e32 v[65:66], s[54:55], v[149:150]
	;; [unrolled: 1-line block ×3, first 2 shown]
	s_delay_alu instid0(VALU_DEP_3) | instskip(NEXT) | instid1(VALU_DEP_3)
	v_fma_f64 v[60:61], v[53:54], s[36:37], -v[58:59]
	v_fma_f64 v[93:94], v[55:56], s[36:37], v[65:66]
	v_fma_f64 v[58:59], v[53:54], s[36:37], v[58:59]
	s_delay_alu instid0(VALU_DEP_3) | instskip(NEXT) | instid1(VALU_DEP_3)
	v_add_f64_e32 v[60:61], v[60:61], v[218:219]
	v_add_f64_e32 v[93:94], v[93:94], v[220:221]
	s_delay_alu instid0(VALU_DEP_3) | instskip(NEXT) | instid1(VALU_DEP_3)
	v_add_f64_e32 v[58:59], v[58:59], v[187:188]
	v_add_f64_e32 v[60:61], v[147:148], v[60:61]
	v_fma_f64 v[147:148], v[51:52], s[18:19], v[145:146]
	s_delay_alu instid0(VALU_DEP_1) | instskip(SKIP_1) | instid1(VALU_DEP_1)
	v_add_f64_e32 v[93:94], v[147:148], v[93:94]
	v_fma_f64 v[147:148], v[45:46], s[34:35], -v[143:144]
	v_add_f64_e32 v[60:61], v[147:148], v[60:61]
	v_fma_f64 v[147:148], v[47:48], s[34:35], v[139:140]
	s_delay_alu instid0(VALU_DEP_1) | instskip(SKIP_1) | instid1(VALU_DEP_1)
	v_add_f64_e32 v[93:94], v[147:148], v[93:94]
	v_fma_f64 v[147:148], v[37:38], s[24:25], -v[135:136]
	;; [unrolled: 5-line block ×4, first 2 shown]
	v_add_f64_e32 v[60:61], v[147:148], v[60:61]
	v_fma_f64 v[147:148], v[35:36], s[26:27], v[101:102]
	s_delay_alu instid0(VALU_DEP_1) | instskip(SKIP_1) | instid1(VALU_DEP_1)
	v_add_f64_e32 v[93:94], v[147:148], v[93:94]
	v_mul_f64_e32 v[147:148], s[60:61], v[99:100]
	v_fma_f64 v[97:98], v[41:42], s[28:29], -v[147:148]
	s_delay_alu instid0(VALU_DEP_1) | instskip(SKIP_1) | instid1(VALU_DEP_1)
	v_add_f64_e32 v[97:98], v[97:98], v[60:61]
	v_fma_f64 v[60:61], v[43:44], s[28:29], v[149:150]
	v_add_f64_e32 v[99:100], v[60:61], v[93:94]
	v_fma_f64 v[60:61], v[55:56], s[36:37], -v[65:66]
	v_fma_f64 v[65:66], v[49:50], s[18:19], v[95:96]
	v_fma_f64 v[93:94], v[43:44], s[28:29], -v[149:150]
	v_fma_f64 v[95:96], v[43:44], s[18:19], -v[183:184]
	s_delay_alu instid0(VALU_DEP_4) | instskip(NEXT) | instid1(VALU_DEP_4)
	v_add_f64_e32 v[60:61], v[60:61], v[185:186]
	v_add_f64_e32 v[58:59], v[65:66], v[58:59]
	v_fma_f64 v[65:66], v[51:52], s[18:19], -v[145:146]
	s_delay_alu instid0(VALU_DEP_1) | instskip(SKIP_1) | instid1(VALU_DEP_1)
	v_add_f64_e32 v[60:61], v[65:66], v[60:61]
	v_fma_f64 v[65:66], v[45:46], s[34:35], v[143:144]
	v_add_f64_e32 v[58:59], v[65:66], v[58:59]
	v_fma_f64 v[65:66], v[47:48], s[34:35], -v[139:140]
	s_delay_alu instid0(VALU_DEP_1) | instskip(SKIP_1) | instid1(VALU_DEP_1)
	v_add_f64_e32 v[60:61], v[65:66], v[60:61]
	v_fma_f64 v[65:66], v[37:38], s[24:25], v[135:136]
	;; [unrolled: 5-line block ×3, first 2 shown]
	v_add_f64_e32 v[58:59], v[65:66], v[58:59]
	v_fma_f64 v[65:66], v[31:32], s[30:31], -v[107:108]
	v_fma_f64 v[107:108], v[43:44], s[36:37], -v[141:142]
	s_delay_alu instid0(VALU_DEP_2) | instskip(SKIP_1) | instid1(VALU_DEP_1)
	v_add_f64_e32 v[60:61], v[65:66], v[60:61]
	v_fma_f64 v[65:66], v[33:34], s[26:27], v[103:104]
	v_add_f64_e32 v[58:59], v[65:66], v[58:59]
	v_fma_f64 v[65:66], v[35:36], s[26:27], -v[101:102]
	s_delay_alu instid0(VALU_DEP_1) | instskip(SKIP_1) | instid1(VALU_DEP_2)
	v_add_f64_e32 v[60:61], v[65:66], v[60:61]
	v_fma_f64 v[65:66], v[41:42], s[28:29], v[147:148]
	v_add_f64_e32 v[103:104], v[93:94], v[60:61]
	scratch_load_b64 v[60:61], off, off offset:56 th:TH_LOAD_LU ; 8-byte Folded Reload
	v_add_f64_e32 v[101:102], v[65:66], v[58:59]
	scratch_load_b64 v[65:66], off, off offset:48 th:TH_LOAD_LU ; 8-byte Folded Reload
	v_fma_f64 v[58:59], v[53:54], s[16:17], v[222:223]
	v_fma_f64 v[93:94], v[43:44], s[34:35], -v[248:249]
	s_wait_loadcnt 0x1
	s_delay_alu instid0(VALU_DEP_2) | instskip(SKIP_2) | instid1(VALU_DEP_1)
	v_add_f64_e32 v[58:59], v[58:59], v[60:61]
	v_fma_f64 v[60:61], v[55:56], s[16:17], -v[224:225]
	s_wait_loadcnt 0x0
	v_add_f64_e32 v[60:61], v[60:61], v[65:66]
	v_fma_f64 v[65:66], v[49:50], s[26:27], v[226:227]
	s_delay_alu instid0(VALU_DEP_1) | instskip(SKIP_1) | instid1(VALU_DEP_1)
	v_add_f64_e32 v[58:59], v[65:66], v[58:59]
	v_fma_f64 v[65:66], v[51:52], s[26:27], -v[228:229]
	v_add_f64_e32 v[60:61], v[65:66], v[60:61]
	v_fma_f64 v[65:66], v[45:46], s[36:37], v[230:231]
	s_delay_alu instid0(VALU_DEP_1) | instskip(SKIP_1) | instid1(VALU_DEP_1)
	v_add_f64_e32 v[58:59], v[65:66], v[58:59]
	v_fma_f64 v[65:66], v[47:48], s[36:37], -v[232:233]
	;; [unrolled: 5-line block ×5, first 2 shown]
	v_add_f64_e32 v[60:61], v[65:66], v[60:61]
	v_fma_f64 v[65:66], v[41:42], s[34:35], v[246:247]
	s_delay_alu instid0(VALU_DEP_2)
	v_add_f64_e32 v[135:136], v[93:94], v[60:61]
	scratch_load_b64 v[60:61], off, off offset:40 th:TH_LOAD_LU ; 8-byte Folded Reload
	v_add_f64_e32 v[133:134], v[65:66], v[58:59]
	scratch_load_b64 v[65:66], off, off offset:32 th:TH_LOAD_LU ; 8-byte Folded Reload
	v_fma_f64 v[58:59], v[53:54], s[24:25], v[157:158]
	s_wait_loadcnt 0x1
	s_delay_alu instid0(VALU_DEP_1) | instskip(SKIP_2) | instid1(VALU_DEP_1)
	v_add_f64_e32 v[58:59], v[58:59], v[60:61]
	v_fma_f64 v[60:61], v[55:56], s[24:25], -v[159:160]
	s_wait_loadcnt 0x0
	v_add_f64_e32 v[60:61], v[60:61], v[65:66]
	v_fma_f64 v[65:66], v[49:50], s[16:17], v[161:162]
	s_delay_alu instid0(VALU_DEP_1) | instskip(SKIP_1) | instid1(VALU_DEP_1)
	v_add_f64_e32 v[58:59], v[65:66], v[58:59]
	v_fma_f64 v[65:66], v[51:52], s[16:17], -v[163:164]
	v_add_f64_e32 v[60:61], v[65:66], v[60:61]
	v_fma_f64 v[65:66], v[45:46], s[26:27], v[165:166]
	s_delay_alu instid0(VALU_DEP_1) | instskip(SKIP_1) | instid1(VALU_DEP_1)
	v_add_f64_e32 v[58:59], v[65:66], v[58:59]
	v_fma_f64 v[65:66], v[47:48], s[26:27], -v[167:168]
	;; [unrolled: 5-line block ×5, first 2 shown]
	v_add_f64_e32 v[60:61], v[65:66], v[60:61]
	v_fma_f64 v[65:66], v[41:42], s[18:19], v[181:182]
	s_delay_alu instid0(VALU_DEP_2)
	v_add_f64_e32 v[95:96], v[95:96], v[60:61]
	scratch_load_b64 v[60:61], off, off offset:24 th:TH_LOAD_LU ; 8-byte Folded Reload
	v_add_f64_e32 v[93:94], v[65:66], v[58:59]
	scratch_load_b64 v[65:66], off, off offset:16 th:TH_LOAD_LU ; 8-byte Folded Reload
	v_fma_f64 v[58:59], v[53:54], s[28:29], v[105:106]
	v_fma_f64 v[53:54], v[53:54], s[34:35], v[63:64]
	s_wait_loadcnt 0x1
	s_delay_alu instid0(VALU_DEP_2) | instskip(SKIP_3) | instid1(VALU_DEP_2)
	v_add_f64_e32 v[58:59], v[58:59], v[60:61]
	v_fma_f64 v[60:61], v[55:56], s[28:29], -v[109:110]
	v_fma_f64 v[55:56], v[55:56], s[34:35], -v[67:68]
	s_wait_loadcnt 0x0
	v_add_f64_e32 v[60:61], v[60:61], v[65:66]
	v_fma_f64 v[65:66], v[49:50], s[24:25], v[111:112]
	v_fma_f64 v[49:50], v[49:50], s[30:31], v[69:70]
	s_delay_alu instid0(VALU_DEP_2) | instskip(SKIP_2) | instid1(VALU_DEP_2)
	v_add_f64_e32 v[58:59], v[65:66], v[58:59]
	v_fma_f64 v[65:66], v[51:52], s[24:25], -v[113:114]
	v_fma_f64 v[51:52], v[51:52], s[30:31], -v[71:72]
	v_add_f64_e32 v[60:61], v[65:66], v[60:61]
	v_fma_f64 v[65:66], v[45:46], s[16:17], v[115:116]
	v_fma_f64 v[45:46], v[45:46], s[28:29], v[73:74]
	s_delay_alu instid0(VALU_DEP_2) | instskip(SKIP_2) | instid1(VALU_DEP_2)
	v_add_f64_e32 v[58:59], v[65:66], v[58:59]
	v_fma_f64 v[65:66], v[47:48], s[16:17], -v[119:120]
	v_fma_f64 v[47:48], v[47:48], s[28:29], -v[75:76]
	;; [unrolled: 7-line block ×5, first 2 shown]
	v_add_f64_e32 v[60:61], v[65:66], v[60:61]
	v_fma_f64 v[65:66], v[41:42], s[36:37], v[137:138]
	s_delay_alu instid0(VALU_DEP_2) | instskip(NEXT) | instid1(VALU_DEP_2)
	v_add_f64_e32 v[107:108], v[107:108], v[60:61]
	v_add_f64_e32 v[105:106], v[65:66], v[58:59]
	scratch_load_b64 v[58:59], off, off th:TH_LOAD_LU ; 8-byte Folded Reload
	s_wait_loadcnt 0x0
	v_add_f64_e32 v[53:54], v[53:54], v[58:59]
	scratch_load_b64 v[58:59], off, off offset:8 th:TH_LOAD_LU ; 8-byte Folded Reload
	global_wb scope:SCOPE_SE
	s_wait_loadcnt 0x0
	s_wait_storecnt 0x0
	s_barrier_signal -1
	s_barrier_wait -1
	global_inv scope:SCOPE_SE
	v_add_f64_e32 v[49:50], v[49:50], v[53:54]
	s_delay_alu instid0(VALU_DEP_1) | instskip(NEXT) | instid1(VALU_DEP_1)
	v_add_f64_e32 v[45:46], v[45:46], v[49:50]
	v_add_f64_e32 v[37:38], v[37:38], v[45:46]
	s_delay_alu instid0(VALU_DEP_1) | instskip(NEXT) | instid1(VALU_DEP_1)
	v_add_f64_e32 v[29:30], v[29:30], v[37:38]
	v_add_f64_e32 v[29:30], v[33:34], v[29:30]
	v_fma_f64 v[33:34], v[41:42], s[16:17], v[89:90]
	s_delay_alu instid0(VALU_DEP_1) | instskip(SKIP_2) | instid1(VALU_DEP_1)
	v_add_f64_e32 v[29:30], v[33:34], v[29:30]
	v_mad_u32_u24 v33, 0x110, v254, v191
	v_add_f64_e32 v[55:56], v[55:56], v[58:59]
	v_add_f64_e32 v[51:52], v[51:52], v[55:56]
	s_delay_alu instid0(VALU_DEP_1) | instskip(NEXT) | instid1(VALU_DEP_1)
	v_add_f64_e32 v[47:48], v[47:48], v[51:52]
	v_add_f64_e32 v[39:40], v[39:40], v[47:48]
	s_delay_alu instid0(VALU_DEP_1) | instskip(NEXT) | instid1(VALU_DEP_1)
	v_add_f64_e32 v[31:32], v[31:32], v[39:40]
	v_add_f64_e32 v[31:32], v[35:36], v[31:32]
	v_fma_f64 v[35:36], v[43:44], s[16:17], -v[91:92]
	s_delay_alu instid0(VALU_DEP_1)
	v_add_f64_e32 v[31:32], v[35:36], v[31:32]
	ds_store_b128 v33, v[5:8]
	ds_store_b128 v33, v[1:4] offset:16
	ds_store_b128 v33, v[9:12] offset:32
	;; [unrolled: 1-line block ×16, first 2 shown]
	v_lshlrev_b32_e32 v17, 8, v254
	global_wb scope:SCOPE_SE
	s_wait_dscnt 0x0
	s_barrier_signal -1
	s_barrier_wait -1
	global_inv scope:SCOPE_SE
	s_clause 0x5
	global_load_b128 v[13:16], v17, s[12:13]
	global_load_b128 v[9:12], v17, s[12:13] offset:16
	global_load_b128 v[5:8], v17, s[12:13] offset:32
	global_load_b128 v[1:4], v17, s[12:13] offset:48
	global_load_b128 v[18:21], v17, s[12:13] offset:64
	global_load_b128 v[22:25], v17, s[12:13] offset:80
	ds_load_b128 v[26:29], v57 offset:272
	ds_load_b128 v[93:96], v0
	ds_load_b128 v[30:33], v57 offset:544
	s_wait_loadcnt_dscnt 0x502
	v_mul_f64_e32 v[34:35], v[28:29], v[15:16]
	v_mul_f64_e32 v[15:16], v[26:27], v[15:16]
	s_delay_alu instid0(VALU_DEP_2) | instskip(NEXT) | instid1(VALU_DEP_2)
	v_fma_f64 v[26:27], v[26:27], v[13:14], -v[34:35]
	v_fma_f64 v[28:29], v[28:29], v[13:14], v[15:16]
	ds_load_b128 v[13:16], v57 offset:816
	s_wait_loadcnt_dscnt 0x401
	v_mul_f64_e32 v[34:35], v[32:33], v[11:12]
	v_mul_f64_e32 v[11:12], v[30:31], v[11:12]
	s_delay_alu instid0(VALU_DEP_2) | instskip(NEXT) | instid1(VALU_DEP_2)
	v_fma_f64 v[41:42], v[30:31], v[9:10], -v[34:35]
	v_fma_f64 v[43:44], v[32:33], v[9:10], v[11:12]
	s_wait_loadcnt_dscnt 0x300
	v_mul_f64_e32 v[11:12], v[15:16], v[7:8]
	v_mul_f64_e32 v[30:31], v[13:14], v[7:8]
	ds_load_b128 v[7:10], v57 offset:1088
	v_fma_f64 v[45:46], v[13:14], v[5:6], -v[11:12]
	ds_load_b128 v[11:14], v57 offset:1360
	v_fma_f64 v[47:48], v[15:16], v[5:6], v[30:31]
	s_wait_loadcnt_dscnt 0x201
	v_mul_f64_e32 v[5:6], v[9:10], v[3:4]
	v_mul_f64_e32 v[3:4], v[7:8], v[3:4]
	s_delay_alu instid0(VALU_DEP_2) | instskip(NEXT) | instid1(VALU_DEP_2)
	v_fma_f64 v[49:50], v[7:8], v[1:2], -v[5:6]
	v_fma_f64 v[51:52], v[9:10], v[1:2], v[3:4]
	s_wait_loadcnt_dscnt 0x100
	v_mul_f64_e32 v[4:5], v[13:14], v[20:21]
	v_mul_f64_e32 v[6:7], v[11:12], v[20:21]
	ds_load_b128 v[0:3], v57 offset:1632
	v_fma_f64 v[53:54], v[11:12], v[18:19], -v[4:5]
	v_fma_f64 v[55:56], v[13:14], v[18:19], v[6:7]
	ds_load_b128 v[4:7], v57 offset:1904
	s_wait_loadcnt_dscnt 0x1
	v_mul_f64_e32 v[8:9], v[2:3], v[24:25]
	v_mul_f64_e32 v[10:11], v[0:1], v[24:25]
	s_delay_alu instid0(VALU_DEP_2) | instskip(NEXT) | instid1(VALU_DEP_2)
	v_fma_f64 v[58:59], v[0:1], v[22:23], -v[8:9]
	v_fma_f64 v[60:61], v[2:3], v[22:23], v[10:11]
	s_clause 0x1
	global_load_b128 v[0:3], v17, s[12:13] offset:96
	global_load_b128 v[8:11], v17, s[12:13] offset:112
	s_wait_loadcnt_dscnt 0x100
	v_mul_f64_e32 v[12:13], v[6:7], v[2:3]
	v_mul_f64_e32 v[2:3], v[4:5], v[2:3]
	s_delay_alu instid0(VALU_DEP_2) | instskip(NEXT) | instid1(VALU_DEP_2)
	v_fma_f64 v[62:63], v[4:5], v[0:1], -v[12:13]
	v_fma_f64 v[64:65], v[6:7], v[0:1], v[2:3]
	ds_load_b128 v[0:3], v57 offset:2176
	ds_load_b128 v[4:7], v57 offset:2448
	s_wait_loadcnt_dscnt 0x1
	v_mul_f64_e32 v[12:13], v[2:3], v[10:11]
	s_delay_alu instid0(VALU_DEP_1) | instskip(SKIP_1) | instid1(VALU_DEP_1)
	v_fma_f64 v[66:67], v[0:1], v[8:9], -v[12:13]
	v_mul_f64_e32 v[0:1], v[0:1], v[10:11]
	v_fma_f64 v[101:102], v[2:3], v[8:9], v[0:1]
	s_clause 0x1
	global_load_b128 v[0:3], v17, s[12:13] offset:128
	global_load_b128 v[8:11], v17, s[12:13] offset:144
	s_wait_loadcnt_dscnt 0x100
	v_mul_f64_e32 v[12:13], v[6:7], v[2:3]
	v_mul_f64_e32 v[2:3], v[4:5], v[2:3]
	s_delay_alu instid0(VALU_DEP_2) | instskip(NEXT) | instid1(VALU_DEP_2)
	v_fma_f64 v[103:104], v[4:5], v[0:1], -v[12:13]
	v_fma_f64 v[133:134], v[6:7], v[0:1], v[2:3]
	ds_load_b128 v[0:3], v57 offset:2720
	ds_load_b128 v[4:7], v57 offset:2992
	s_wait_loadcnt_dscnt 0x1
	v_mul_f64_e32 v[12:13], v[2:3], v[10:11]
	v_add_f64_e32 v[185:186], v[66:67], v[103:104]
	v_add_f64_e32 v[189:190], v[101:102], v[133:134]
	s_delay_alu instid0(VALU_DEP_3) | instskip(SKIP_1) | instid1(VALU_DEP_2)
	v_fma_f64 v[99:100], v[0:1], v[8:9], -v[12:13]
	v_mul_f64_e32 v[0:1], v[0:1], v[10:11]
	v_add_f64_e32 v[169:170], v[62:63], v[99:100]
	s_delay_alu instid0(VALU_DEP_2)
	v_fma_f64 v[97:98], v[2:3], v[8:9], v[0:1]
	s_clause 0x1
	global_load_b128 v[0:3], v17, s[12:13] offset:160
	global_load_b128 v[8:11], v17, s[12:13] offset:176
	v_add_f64_e32 v[173:174], v[64:65], v[97:98]
	s_wait_loadcnt_dscnt 0x100
	v_mul_f64_e32 v[12:13], v[6:7], v[2:3]
	v_mul_f64_e32 v[2:3], v[4:5], v[2:3]
	s_delay_alu instid0(VALU_DEP_2) | instskip(NEXT) | instid1(VALU_DEP_2)
	v_fma_f64 v[69:70], v[4:5], v[0:1], -v[12:13]
	v_fma_f64 v[71:72], v[6:7], v[0:1], v[2:3]
	ds_load_b128 v[0:3], v57 offset:3264
	ds_load_b128 v[4:7], v57 offset:3536
	s_wait_loadcnt_dscnt 0x1
	v_mul_f64_e32 v[12:13], v[2:3], v[10:11]
	v_add_f64_e32 v[153:154], v[60:61], v[71:72]
	s_delay_alu instid0(VALU_DEP_2)
	v_fma_f64 v[75:76], v[0:1], v[8:9], -v[12:13]
	v_mul_f64_e32 v[0:1], v[0:1], v[10:11]
	global_load_b128 v[12:15], v17, s[12:13] offset:224
	v_add_f64_e64 v[227:228], v[53:54], -v[75:76]
	v_fma_f64 v[77:78], v[2:3], v[8:9], v[0:1]
	global_load_b128 v[0:3], v17, s[12:13] offset:240
	ds_load_b128 v[8:11], v57 offset:4352
	v_mul_f64_e32 v[211:212], s[66:67], v[227:228]
	v_add_f64_e64 v[225:226], v[55:56], -v[77:78]
	v_mul_f64_e32 v[243:244], s[56:57], v[227:228]
	s_delay_alu instid0(VALU_DEP_2) | instskip(SKIP_4) | instid1(VALU_DEP_2)
	v_mul_f64_e32 v[209:210], s[66:67], v[225:226]
	v_mul_f64_e32 v[241:242], s[56:57], v[225:226]
	s_wait_loadcnt_dscnt 0x0
	v_mul_f64_e32 v[18:19], v[8:9], v[2:3]
	v_mul_f64_e32 v[2:3], v[10:11], v[2:3]
	v_fma_f64 v[73:74], v[10:11], v[0:1], v[18:19]
	s_delay_alu instid0(VALU_DEP_2)
	v_fma_f64 v[79:80], v[8:9], v[0:1], -v[2:3]
	s_clause 0x1
	global_load_b128 v[0:3], v17, s[12:13] offset:192
	global_load_b128 v[8:11], v17, s[12:13] offset:208
	v_add_f64_e32 v[115:116], v[28:29], v[73:74]
	s_wait_loadcnt 0x1
	v_mul_f64_e32 v[16:17], v[6:7], v[2:3]
	v_mul_f64_e32 v[2:3], v[4:5], v[2:3]
	s_delay_alu instid0(VALU_DEP_2) | instskip(NEXT) | instid1(VALU_DEP_2)
	v_fma_f64 v[81:82], v[4:5], v[0:1], -v[16:17]
	v_fma_f64 v[83:84], v[6:7], v[0:1], v[2:3]
	ds_load_b128 v[0:3], v57 offset:3808
	ds_load_b128 v[4:7], v57 offset:4080
	s_wait_loadcnt_dscnt 0x1
	v_mul_f64_e32 v[16:17], v[2:3], v[10:11]
	v_add_f64_e64 v[195:196], v[49:50], -v[81:82]
	v_add_f64_e64 v[193:194], v[51:52], -v[83:84]
	s_delay_alu instid0(VALU_DEP_3)
	v_fma_f64 v[85:86], v[0:1], v[8:9], -v[16:17]
	v_mul_f64_e32 v[0:1], v[0:1], v[10:11]
	v_add_f64_e32 v[16:17], v[26:27], v[79:80]
	v_mul_f64_e32 v[207:208], s[46:47], v[195:196]
	v_mul_f64_e32 v[205:206], s[46:47], v[193:194]
	;; [unrolled: 1-line block ×4, first 2 shown]
	v_add_f64_e64 v[183:184], v[45:46], -v[85:86]
	v_fma_f64 v[87:88], v[2:3], v[8:9], v[0:1]
	s_wait_dscnt 0x0
	v_mul_f64_e32 v[0:1], v[6:7], v[14:15]
	s_delay_alu instid0(VALU_DEP_3) | instskip(NEXT) | instid1(VALU_DEP_3)
	v_mul_f64_e32 v[203:204], s[40:41], v[183:184]
	v_add_f64_e64 v[181:182], v[47:48], -v[87:88]
	s_delay_alu instid0(VALU_DEP_3) | instskip(SKIP_2) | instid1(VALU_DEP_4)
	v_fma_f64 v[89:90], v[4:5], v[12:13], -v[0:1]
	v_mul_f64_e32 v[0:1], v[4:5], v[14:15]
	v_mul_f64_e32 v[235:236], s[68:69], v[183:184]
	;; [unrolled: 1-line block ×3, first 2 shown]
	s_delay_alu instid0(VALU_DEP_4) | instskip(NEXT) | instid1(VALU_DEP_4)
	v_add_f64_e64 v[163:164], v[41:42], -v[89:90]
	v_fma_f64 v[91:92], v[6:7], v[12:13], v[0:1]
	v_add_f64_e64 v[0:1], v[28:29], -v[73:74]
	s_delay_alu instid0(VALU_DEP_2) | instskip(NEXT) | instid1(VALU_DEP_2)
	v_add_f64_e64 v[161:162], v[43:44], -v[91:92]
	v_mul_f64_e32 v[8:9], s[48:49], v[0:1]
	v_mul_f64_e32 v[4:5], s[50:51], v[0:1]
	;; [unrolled: 1-line block ×9, first 2 shown]
	v_fma_f64 v[24:25], v[16:17], s[28:29], -v[8:9]
	v_fma_f64 v[30:31], v[16:17], s[28:29], v[8:9]
	v_add_f64_e64 v[8:9], v[26:27], -v[79:80]
	v_fma_f64 v[20:21], v[16:17], s[34:35], -v[4:5]
	v_fma_f64 v[4:5], v[16:17], s[34:35], v[4:5]
	v_fma_f64 v[107:108], v[16:17], s[24:25], -v[12:13]
	v_fma_f64 v[109:110], v[16:17], s[24:25], v[12:13]
	;; [unrolled: 2-line block ×7, first 2 shown]
	v_mul_f64_e32 v[229:230], s[40:41], v[161:162]
	v_mul_f64_e32 v[157:158], s[66:67], v[161:162]
	;; [unrolled: 1-line block ×10, first 2 shown]
	v_add_f64_e32 v[4:5], v[93:94], v[4:5]
	v_add_f64_e32 v[2:3], v[93:94], v[2:3]
	;; [unrolled: 1-line block ×3, first 2 shown]
	v_add_f64_e64 v[22:23], v[58:59], -v[69:70]
	v_add_f64_e32 v[0:1], v[93:94], v[0:1]
	v_fma_f64 v[123:124], v[115:116], s[34:35], v[12:13]
	v_fma_f64 v[12:13], v[115:116], s[34:35], -v[12:13]
	v_fma_f64 v[125:126], v[115:116], s[30:31], v[14:15]
	v_fma_f64 v[14:15], v[115:116], s[30:31], -v[14:15]
	;; [unrolled: 2-line block ×3, first 2 shown]
	v_fma_f64 v[141:142], v[115:116], s[24:25], -v[34:35]
	v_fma_f64 v[147:148], v[115:116], s[16:17], v[8:9]
	v_fma_f64 v[149:150], v[115:116], s[16:17], -v[8:9]
	v_add_f64_e32 v[8:9], v[93:94], v[26:27]
	scratch_store_b64 off, v[4:5], off offset:56 ; 8-byte Folded Spill
	v_fma_f64 v[145:146], v[115:116], s[18:19], -v[113:114]
	v_add_f64_e32 v[26:27], v[93:94], v[105:106]
	v_add_f64_e32 v[105:106], v[41:42], v[89:90]
	v_fma_f64 v[10:11], v[115:116], s[36:37], -v[10:11]
	v_fma_f64 v[131:132], v[115:116], s[26:27], v[32:33]
	v_fma_f64 v[127:128], v[115:116], s[28:29], v[16:17]
	v_fma_f64 v[137:138], v[115:116], s[26:27], -v[32:33]
	v_fma_f64 v[139:140], v[115:116], s[24:25], v[34:35]
	v_add_f64_e32 v[16:17], v[93:94], v[24:25]
	v_fma_f64 v[143:144], v[115:116], s[18:19], v[113:114]
	v_add_f64_e32 v[35:36], v[93:94], v[20:21]
	v_add_f64_e64 v[20:21], v[64:65], -v[97:98]
	v_mul_f64_e32 v[155:156], s[40:41], v[22:23]
	v_mul_f64_e32 v[215:216], s[62:63], v[22:23]
	;; [unrolled: 1-line block ×3, first 2 shown]
	scratch_store_b64 off, v[0:1], off offset:208 ; 8-byte Folded Spill
	v_add_f64_e32 v[33:34], v[95:96], v[123:124]
	v_add_f64_e32 v[4:5], v[95:96], v[12:13]
	;; [unrolled: 1-line block ×4, first 2 shown]
	v_add_f64_e64 v[12:13], v[101:102], -v[133:134]
	v_add_f64_e32 v[123:124], v[93:94], v[107:108]
	v_add_f64_e32 v[0:1], v[95:96], v[149:150]
	scratch_store_b64 off, v[8:9], off      ; 8-byte Folded Spill
	v_add_f64_e32 v[8:9], v[95:96], v[28:29]
	v_add_f64_e32 v[149:150], v[58:59], v[69:70]
	;; [unrolled: 1-line block ×3, first 2 shown]
	v_mul_f64_e32 v[131:132], s[48:49], v[195:196]
	v_add_f64_e32 v[28:29], v[95:96], v[137:138]
	v_add_f64_e32 v[137:138], v[53:54], v[75:76]
	v_mul_f64_e32 v[171:172], s[42:43], v[20:21]
	v_mul_f64_e32 v[217:218], s[52:53], v[20:21]
	;; [unrolled: 1-line block ×3, first 2 shown]
	scratch_store_b64 off, v[4:5], off offset:48 ; 8-byte Folded Spill
	v_add_f64_e32 v[4:5], v[93:94], v[6:7]
	v_add_f64_e32 v[6:7], v[95:96], v[143:144]
	v_mul_f64_e32 v[143:144], s[38:39], v[227:228]
	v_mul_f64_e32 v[187:188], s[46:47], v[12:13]
	;; [unrolled: 1-line block ×4, first 2 shown]
	scratch_store_b64 off, v[4:5], off offset:88 ; 8-byte Folded Spill
	v_add_f64_e32 v[4:5], v[95:96], v[14:15]
	scratch_store_b64 off, v[8:9], off offset:8 ; 8-byte Folded Spill
	v_add_f64_e32 v[8:9], v[93:94], v[18:19]
	v_add_f64_e32 v[18:19], v[95:96], v[127:128]
	;; [unrolled: 1-line block ×3, first 2 shown]
	v_mul_f64_e32 v[139:140], s[38:39], v[225:226]
	v_add_f64_e64 v[14:15], v[62:63], -v[99:100]
	scratch_store_b64 off, v[4:5], off offset:80 ; 8-byte Folded Spill
	v_add_f64_e32 v[4:5], v[93:94], v[30:31]
	scratch_store_b64 off, v[8:9], off offset:24 ; 8-byte Folded Spill
	v_add_f64_e32 v[8:9], v[95:96], v[121:122]
	v_add_f64_e32 v[121:122], v[95:96], v[10:11]
	;; [unrolled: 1-line block ×3, first 2 shown]
	v_fma_f64 v[37:38], v[153:154], s[24:25], -v[155:156]
	v_mul_f64_e32 v[175:176], s[42:43], v[14:15]
	v_fma_f64 v[10:11], v[185:186], s[16:17], v[187:188]
	v_mul_f64_e32 v[219:220], s[52:53], v[14:15]
	v_mul_f64_e32 v[251:252], s[48:49], v[14:15]
	scratch_store_b64 off, v[4:5], off offset:176 ; 8-byte Folded Spill
	v_add_f64_e32 v[4:5], v[95:96], v[129:130]
	scratch_store_b64 off, v[8:9], off offset:16 ; 8-byte Folded Spill
	v_add_f64_e32 v[129:130], v[51:52], v[83:84]
	v_add_f64_e64 v[8:9], v[66:67], -v[103:104]
	scratch_store_b64 off, v[4:5], off offset:168 ; 8-byte Folded Spill
	v_add_f64_e32 v[4:5], v[93:94], v[109:110]
	v_add_f64_e32 v[109:110], v[43:44], v[91:92]
	v_mul_f64_e32 v[191:192], s[46:47], v[8:9]
	v_mul_f64_e32 v[223:224], s[54:55], v[8:9]
	scratch_store_b64 off, v[4:5], off offset:280 ; 8-byte Folded Spill
	v_add_f64_e32 v[4:5], v[95:96], v[141:142]
	v_add_f64_e32 v[141:142], v[55:56], v[77:78]
	scratch_store_b64 off, v[4:5], off offset:272 ; 8-byte Folded Spill
	v_add_f64_e32 v[4:5], v[93:94], v[111:112]
	scratch_store_b64 off, v[4:5], off offset:264 ; 8-byte Folded Spill
	v_add_f64_e32 v[4:5], v[93:94], v[117:118]
	v_add_f64_e32 v[117:118], v[45:46], v[85:86]
	scratch_store_b64 off, v[4:5], off offset:256 ; 8-byte Folded Spill
	v_add_f64_e32 v[4:5], v[95:96], v[145:146]
	scratch_store_b64 off, v[4:5], off offset:248 ; 8-byte Folded Spill
	v_add_f64_e32 v[4:5], v[93:94], v[119:120]
	v_fma_f64 v[93:94], v[169:170], s[18:19], v[171:172]
	scratch_store_b64 off, v[4:5], off offset:224 ; 8-byte Folded Spill
	v_add_f64_e32 v[4:5], v[95:96], v[147:148]
	v_fma_f64 v[95:96], v[173:174], s[18:19], -v[175:176]
	s_clause 0x2
	scratch_store_b64 off, v[4:5], off offset:216
	scratch_store_b64 off, v[0:1], off offset:200
	;; [unrolled: 1-line block ×3, first 2 shown]
	v_mul_f64_e32 v[0:1], s[50:51], v[161:162]
	scratch_store_b64 off, v[41:42], off offset:32 ; 8-byte Folded Spill
	v_mul_f64_e32 v[4:5], s[58:59], v[181:182]
	scratch_store_b64 off, v[45:46], off offset:96 ; 8-byte Folded Spill
	v_add_f64_e64 v[43:44], v[60:61], -v[71:72]
	s_clause 0x4
	scratch_store_b64 off, v[49:50], off offset:128
	scratch_store_b64 off, v[60:61], off offset:192
	;; [unrolled: 1-line block ×5, first 2 shown]
	v_mul_f64_e32 v[64:65], s[40:41], v[181:182]
	v_mul_f64_e32 v[62:63], s[42:43], v[8:9]
	;; [unrolled: 1-line block ×6, first 2 shown]
	scratch_store_b64 off, v[53:54], off offset:152 ; 8-byte Folded Spill
	v_mul_f64_e32 v[53:54], s[56:57], v[8:9]
	scratch_store_b64 off, v[0:1], off offset:64 ; 8-byte Folded Spill
	v_fma_f64 v[0:1], v[105:106], s[34:35], v[0:1]
	scratch_store_b64 off, v[4:5], off offset:112 ; 8-byte Folded Spill
	v_fma_f64 v[4:5], v[117:118], s[30:31], v[4:5]
	v_mul_f64_e32 v[151:152], s[40:41], v[43:44]
	v_mul_f64_e32 v[213:214], s[62:63], v[43:44]
	;; [unrolled: 1-line block ×3, first 2 shown]
	v_fma_f64 v[41:42], v[117:118], s[24:25], -v[64:65]
	v_add_f64_e32 v[0:1], v[0:1], v[2:3]
	v_mul_f64_e32 v[2:3], s[50:51], v[163:164]
	s_delay_alu instid0(VALU_DEP_2)
	v_add_f64_e32 v[0:1], v[4:5], v[0:1]
	scratch_store_b64 off, v[2:3], off offset:72 ; 8-byte Folded Spill
	v_fma_f64 v[2:3], v[109:110], s[34:35], -v[2:3]
	v_mul_f64_e32 v[4:5], s[58:59], v[183:184]
	scratch_store_b64 off, v[47:48], off offset:104 ; 8-byte Folded Spill
	v_add_f64_e32 v[2:3], v[2:3], v[121:122]
	scratch_store_b64 off, v[4:5], off offset:120 ; 8-byte Folded Spill
	v_add_f64_e32 v[121:122], v[47:48], v[87:88]
	v_mul_f64_e32 v[47:48], s[54:55], v[193:194]
	s_delay_alu instid0(VALU_DEP_2) | instskip(NEXT) | instid1(VALU_DEP_1)
	v_fma_f64 v[4:5], v[121:122], s[30:31], -v[4:5]
	v_add_f64_e32 v[2:3], v[4:5], v[2:3]
	v_mul_f64_e32 v[4:5], s[48:49], v[193:194]
	scratch_store_b64 off, v[51:52], off offset:136 ; 8-byte Folded Spill
	v_mul_f64_e32 v[51:52], s[64:65], v[20:21]
	scratch_store_b64 off, v[4:5], off offset:144 ; 8-byte Folded Spill
	v_fma_f64 v[4:5], v[125:126], s[28:29], v[4:5]
	s_clause 0x4
	scratch_store_b64 off, v[55:56], off offset:160
	scratch_store_b64 off, v[101:102], off offset:312
	;; [unrolled: 1-line block ×5, first 2 shown]
	v_mul_f64_e32 v[66:67], s[48:49], v[163:164]
	v_mul_f64_e32 v[55:56], s[42:43], v[22:23]
	v_add_f64_e32 v[0:1], v[4:5], v[0:1]
	v_fma_f64 v[4:5], v[129:130], s[28:29], -v[131:132]
	s_delay_alu instid0(VALU_DEP_1) | instskip(SKIP_1) | instid1(VALU_DEP_1)
	v_add_f64_e32 v[2:3], v[4:5], v[2:3]
	v_fma_f64 v[4:5], v[137:138], s[26:27], v[139:140]
	v_add_f64_e32 v[0:1], v[4:5], v[0:1]
	v_fma_f64 v[4:5], v[141:142], s[26:27], -v[143:144]
	s_delay_alu instid0(VALU_DEP_1) | instskip(SKIP_1) | instid1(VALU_DEP_2)
	v_add_f64_e32 v[2:3], v[4:5], v[2:3]
	v_fma_f64 v[4:5], v[149:150], s[24:25], v[151:152]
	v_add_f64_e32 v[37:38], v[37:38], v[2:3]
	s_delay_alu instid0(VALU_DEP_2) | instskip(SKIP_2) | instid1(VALU_DEP_4)
	v_add_f64_e32 v[0:1], v[4:5], v[0:1]
	v_mul_f64_e32 v[4:5], s[56:57], v[20:21]
	v_mul_f64_e32 v[2:3], s[56:57], v[14:15]
	v_add_f64_e32 v[37:38], v[95:96], v[37:38]
	s_delay_alu instid0(VALU_DEP_4) | instskip(SKIP_3) | instid1(VALU_DEP_1)
	v_add_f64_e32 v[93:94], v[93:94], v[0:1]
	scratch_load_b64 v[0:1], off, off offset:280 th:TH_LOAD_LU ; 8-byte Folded Reload
	v_add_f64_e32 v[93:94], v[10:11], v[93:94]
	v_fma_f64 v[10:11], v[189:190], s[16:17], -v[191:192]
	v_add_f64_e32 v[95:96], v[10:11], v[37:38]
	v_fma_f64 v[10:11], v[105:106], s[28:29], -v[197:198]
	s_delay_alu instid0(VALU_DEP_1) | instskip(SKIP_2) | instid1(VALU_DEP_3)
	v_add_f64_e32 v[37:38], v[10:11], v[35:36]
	v_fma_f64 v[35:36], v[109:110], s[28:29], v[66:67]
	v_mul_f64_e32 v[10:11], s[46:47], v[161:162]
	v_add_f64_e32 v[37:38], v[41:42], v[37:38]
	s_delay_alu instid0(VALU_DEP_3) | instskip(SKIP_2) | instid1(VALU_DEP_2)
	v_add_f64_e32 v[33:34], v[35:36], v[33:34]
	v_fma_f64 v[41:42], v[121:122], s[24:25], v[203:204]
	v_mul_f64_e32 v[35:36], s[62:63], v[181:182]
	v_add_f64_e32 v[33:34], v[41:42], v[33:34]
	v_fma_f64 v[41:42], v[125:126], s[16:17], -v[205:206]
	s_delay_alu instid0(VALU_DEP_1) | instskip(SKIP_1) | instid1(VALU_DEP_1)
	v_add_f64_e32 v[37:38], v[41:42], v[37:38]
	v_fma_f64 v[41:42], v[129:130], s[16:17], v[207:208]
	v_add_f64_e32 v[33:34], v[41:42], v[33:34]
	v_fma_f64 v[41:42], v[137:138], s[18:19], -v[209:210]
	s_delay_alu instid0(VALU_DEP_1) | instskip(SKIP_1) | instid1(VALU_DEP_1)
	v_add_f64_e32 v[37:38], v[41:42], v[37:38]
	v_fma_f64 v[41:42], v[141:142], s[18:19], v[211:212]
	;; [unrolled: 5-line block ×5, first 2 shown]
	v_add_f64_e32 v[201:202], v[37:38], v[33:34]
	v_fma_f64 v[33:34], v[105:106], s[24:25], -v[229:230]
	s_delay_alu instid0(VALU_DEP_1) | instskip(SKIP_1) | instid1(VALU_DEP_1)
	v_add_f64_e32 v[33:34], v[33:34], v[231:232]
	v_mul_f64_e32 v[231:232], s[40:41], v[163:164]
	v_fma_f64 v[37:38], v[109:110], s[24:25], v[231:232]
	s_delay_alu instid0(VALU_DEP_1) | instskip(SKIP_1) | instid1(VALU_DEP_1)
	v_add_f64_e32 v[37:38], v[37:38], v[39:40]
	v_fma_f64 v[39:40], v[117:118], s[16:17], -v[233:234]
	v_add_f64_e32 v[33:34], v[39:40], v[33:34]
	v_fma_f64 v[39:40], v[121:122], s[16:17], v[235:236]
	s_delay_alu instid0(VALU_DEP_1) | instskip(SKIP_1) | instid1(VALU_DEP_1)
	v_add_f64_e32 v[37:38], v[39:40], v[37:38]
	v_fma_f64 v[39:40], v[125:126], s[26:27], -v[237:238]
	v_add_f64_e32 v[33:34], v[39:40], v[33:34]
	;; [unrolled: 5-line block ×6, first 2 shown]
	v_fma_f64 v[39:40], v[189:190], s[18:19], v[62:63]
	v_mul_f64_e32 v[33:34], s[46:47], v[163:164]
	s_delay_alu instid0(VALU_DEP_2) | instskip(SKIP_1) | instid1(VALU_DEP_1)
	v_add_f64_e32 v[103:104], v[39:40], v[37:38]
	v_fma_f64 v[37:38], v[105:106], s[16:17], -v[10:11]
	v_add_f64_e32 v[16:17], v[37:38], v[16:17]
	s_delay_alu instid0(VALU_DEP_4) | instskip(NEXT) | instid1(VALU_DEP_1)
	v_fma_f64 v[37:38], v[109:110], s[16:17], v[33:34]
	v_add_f64_e32 v[18:19], v[37:38], v[18:19]
	v_fma_f64 v[37:38], v[117:118], s[26:27], -v[35:36]
	s_delay_alu instid0(VALU_DEP_1) | instskip(SKIP_1) | instid1(VALU_DEP_1)
	v_add_f64_e32 v[16:17], v[37:38], v[16:17]
	v_fma_f64 v[37:38], v[121:122], s[26:27], v[45:46]
	v_add_f64_e32 v[18:19], v[37:38], v[18:19]
	v_fma_f64 v[37:38], v[125:126], s[36:37], -v[47:48]
	s_delay_alu instid0(VALU_DEP_1) | instskip(SKIP_1) | instid1(VALU_DEP_1)
	v_add_f64_e32 v[16:17], v[37:38], v[16:17]
	v_fma_f64 v[37:38], v[129:130], s[36:37], v[49:50]
	v_add_f64_e32 v[18:19], v[37:38], v[18:19]
	v_mul_f64_e32 v[37:38], s[58:59], v[225:226]
	s_delay_alu instid0(VALU_DEP_1) | instskip(NEXT) | instid1(VALU_DEP_1)
	v_fma_f64 v[39:40], v[137:138], s[30:31], -v[37:38]
	v_add_f64_e32 v[16:17], v[39:40], v[16:17]
	v_mul_f64_e32 v[39:40], s[58:59], v[227:228]
	s_delay_alu instid0(VALU_DEP_1) | instskip(NEXT) | instid1(VALU_DEP_1)
	v_fma_f64 v[41:42], v[141:142], s[30:31], v[39:40]
	v_add_f64_e32 v[18:19], v[41:42], v[18:19]
	v_mul_f64_e32 v[41:42], s[42:43], v[43:44]
	s_delay_alu instid0(VALU_DEP_1) | instskip(NEXT) | instid1(VALU_DEP_1)
	v_fma_f64 v[145:146], v[149:150], s[18:19], -v[41:42]
	v_add_f64_e32 v[16:17], v[145:146], v[16:17]
	v_fma_f64 v[145:146], v[153:154], s[18:19], v[55:56]
	s_delay_alu instid0(VALU_DEP_1) | instskip(SKIP_1) | instid1(VALU_DEP_1)
	v_add_f64_e32 v[18:19], v[145:146], v[18:19]
	v_fma_f64 v[145:146], v[169:170], s[24:25], -v[51:52]
	v_add_f64_e32 v[16:17], v[145:146], v[16:17]
	v_fma_f64 v[145:146], v[173:174], s[24:25], v[60:61]
	s_delay_alu instid0(VALU_DEP_1) | instskip(SKIP_1) | instid1(VALU_DEP_1)
	v_add_f64_e32 v[18:19], v[145:146], v[18:19]
	;; [unrolled: 5-line block ×3, first 2 shown]
	v_fma_f64 v[16:17], v[105:106], s[18:19], -v[157:158]
	v_add_f64_e32 v[16:17], v[16:17], v[30:31]
	v_mul_f64_e32 v[30:31], s[66:67], v[163:164]
	s_delay_alu instid0(VALU_DEP_1) | instskip(SKIP_1) | instid1(VALU_DEP_2)
	v_fma_f64 v[18:19], v[109:110], s[18:19], v[30:31]
	v_fma_f64 v[30:31], v[109:110], s[18:19], -v[30:31]
	v_add_f64_e32 v[18:19], v[18:19], v[24:25]
	v_mul_f64_e32 v[24:25], s[56:57], v[181:182]
	s_delay_alu instid0(VALU_DEP_3) | instskip(NEXT) | instid1(VALU_DEP_2)
	v_add_f64_e32 v[28:29], v[30:31], v[28:29]
	v_fma_f64 v[159:160], v[117:118], s[34:35], -v[24:25]
	v_fma_f64 v[24:25], v[117:118], s[34:35], v[24:25]
	s_delay_alu instid0(VALU_DEP_2) | instskip(SKIP_1) | instid1(VALU_DEP_1)
	v_add_f64_e32 v[16:17], v[159:160], v[16:17]
	v_mul_f64_e32 v[159:160], s[56:57], v[183:184]
	v_fma_f64 v[135:136], v[121:122], s[34:35], v[159:160]
	s_delay_alu instid0(VALU_DEP_1) | instskip(SKIP_1) | instid1(VALU_DEP_1)
	v_add_f64_e32 v[18:19], v[135:136], v[18:19]
	v_mul_f64_e32 v[135:136], s[58:59], v[193:194]
	v_fma_f64 v[133:134], v[125:126], s[30:31], -v[135:136]
	s_delay_alu instid0(VALU_DEP_1) | instskip(SKIP_1) | instid1(VALU_DEP_1)
	v_add_f64_e32 v[16:17], v[133:134], v[16:17]
	v_mul_f64_e32 v[133:134], s[58:59], v[195:196]
	v_fma_f64 v[165:166], v[129:130], s[30:31], v[133:134]
	s_delay_alu instid0(VALU_DEP_1) | instskip(SKIP_1) | instid1(VALU_DEP_1)
	v_add_f64_e32 v[18:19], v[165:166], v[18:19]
	v_mul_f64_e32 v[165:166], s[46:47], v[225:226]
	v_fma_f64 v[167:168], v[137:138], s[16:17], -v[165:166]
	s_delay_alu instid0(VALU_DEP_1) | instskip(SKIP_1) | instid1(VALU_DEP_1)
	;; [unrolled: 8-line block ×5, first 2 shown]
	v_add_f64_e32 v[16:17], v[111:112], v[16:17]
	v_mul_f64_e32 v[111:112], s[40:41], v[8:9]
	v_fma_f64 v[107:108], v[189:190], s[24:25], v[111:112]
	v_fma_f64 v[30:31], v[189:190], s[24:25], -v[111:112]
	v_mul_f64_e32 v[111:112], s[44:45], v[181:182]
	s_delay_alu instid0(VALU_DEP_3) | instskip(SKIP_1) | instid1(VALU_DEP_1)
	v_add_f64_e32 v[18:19], v[107:108], v[18:19]
	v_fma_f64 v[107:108], v[105:106], s[18:19], v[157:158]
	v_add_f64_e32 v[26:27], v[107:108], v[26:27]
	v_mul_f64_e32 v[107:108], s[62:63], v[163:164]
	s_delay_alu instid0(VALU_DEP_2) | instskip(SKIP_1) | instid1(VALU_DEP_1)
	v_add_f64_e32 v[24:25], v[24:25], v[26:27]
	v_fma_f64 v[26:27], v[121:122], s[34:35], -v[159:160]
	v_add_f64_e32 v[26:27], v[26:27], v[28:29]
	v_fma_f64 v[28:29], v[125:126], s[30:31], v[135:136]
	v_mul_f64_e32 v[135:136], s[50:51], v[43:44]
	s_delay_alu instid0(VALU_DEP_2) | instskip(SKIP_2) | instid1(VALU_DEP_2)
	v_add_f64_e32 v[24:25], v[28:29], v[24:25]
	v_fma_f64 v[28:29], v[129:130], s[30:31], -v[133:134]
	v_mul_f64_e32 v[133:134], s[60:61], v[227:228]
	v_add_f64_e32 v[26:27], v[28:29], v[26:27]
	v_fma_f64 v[28:29], v[137:138], s[16:17], v[165:166]
	v_mul_f64_e32 v[165:166], s[50:51], v[22:23]
	s_delay_alu instid0(VALU_DEP_2) | instskip(SKIP_3) | instid1(VALU_DEP_3)
	v_add_f64_e32 v[24:25], v[28:29], v[24:25]
	v_fma_f64 v[28:29], v[141:142], s[16:17], -v[167:168]
	v_mul_f64_e32 v[167:168], s[46:47], v[20:21]
	v_mul_f64_e32 v[20:21], s[38:39], v[20:21]
	v_add_f64_e32 v[26:27], v[28:29], v[26:27]
	v_fma_f64 v[28:29], v[149:150], s[28:29], v[177:178]
	v_mul_f64_e32 v[177:178], s[46:47], v[14:15]
	v_mul_f64_e32 v[14:15], s[38:39], v[14:15]
	s_delay_alu instid0(VALU_DEP_3) | instskip(SKIP_2) | instid1(VALU_DEP_2)
	v_add_f64_e32 v[24:25], v[28:29], v[24:25]
	v_fma_f64 v[28:29], v[153:154], s[28:29], -v[179:180]
	v_mul_f64_e32 v[179:180], s[52:53], v[12:13]
	v_add_f64_e32 v[26:27], v[28:29], v[26:27]
	v_fma_f64 v[28:29], v[169:170], s[36:37], v[115:116]
	v_mul_f64_e32 v[115:116], s[42:43], v[193:194]
	s_delay_alu instid0(VALU_DEP_2) | instskip(SKIP_2) | instid1(VALU_DEP_2)
	v_add_f64_e32 v[24:25], v[28:29], v[24:25]
	v_fma_f64 v[28:29], v[173:174], s[36:37], -v[113:114]
	v_mul_f64_e32 v[113:114], s[44:45], v[183:184]
	v_add_f64_e32 v[26:27], v[28:29], v[26:27]
	v_fma_f64 v[28:29], v[185:186], s[24:25], v[119:120]
	v_mul_f64_e32 v[119:120], s[42:43], v[195:196]
	s_delay_alu instid0(VALU_DEP_3) | instskip(NEXT) | instid1(VALU_DEP_3)
	v_add_f64_e32 v[159:160], v[30:31], v[26:27]
	v_add_f64_e32 v[157:158], v[28:29], v[24:25]
	v_mul_f64_e32 v[24:25], s[62:63], v[161:162]
	v_fma_f64 v[28:29], v[109:110], s[26:27], v[107:108]
	v_fma_f64 v[30:31], v[117:118], s[36:37], -v[111:112]
	v_fma_f64 v[107:108], v[109:110], s[26:27], -v[107:108]
	v_fma_f64 v[111:112], v[117:118], s[36:37], v[111:112]
	v_fma_f64 v[26:27], v[105:106], s[26:27], -v[24:25]
	v_fma_f64 v[24:25], v[105:106], s[26:27], v[24:25]
	v_add_f64_e32 v[28:29], v[28:29], v[127:128]
	s_delay_alu instid0(VALU_DEP_3) | instskip(SKIP_1) | instid1(VALU_DEP_3)
	v_add_f64_e32 v[26:27], v[26:27], v[123:124]
	s_wait_loadcnt 0x0
	v_add_f64_e32 v[24:25], v[24:25], v[0:1]
	scratch_load_b64 v[0:1], off, off offset:272 th:TH_LOAD_LU ; 8-byte Folded Reload
	v_mul_f64_e32 v[123:124], s[60:61], v[225:226]
	v_add_f64_e32 v[26:27], v[30:31], v[26:27]
	v_fma_f64 v[30:31], v[121:122], s[36:37], v[113:114]
	v_add_f64_e32 v[24:25], v[111:112], v[24:25]
	v_fma_f64 v[111:112], v[121:122], s[36:37], -v[113:114]
	v_mul_f64_e32 v[113:114], s[52:53], v[163:164]
	s_delay_alu instid0(VALU_DEP_4) | instskip(SKIP_1) | instid1(VALU_DEP_1)
	v_add_f64_e32 v[28:29], v[30:31], v[28:29]
	v_fma_f64 v[30:31], v[125:126], s[18:19], -v[115:116]
	v_add_f64_e32 v[26:27], v[30:31], v[26:27]
	v_fma_f64 v[30:31], v[129:130], s[18:19], v[119:120]
	s_delay_alu instid0(VALU_DEP_1) | instskip(SKIP_1) | instid1(VALU_DEP_1)
	v_add_f64_e32 v[28:29], v[30:31], v[28:29]
	v_fma_f64 v[30:31], v[137:138], s[28:29], -v[123:124]
	v_add_f64_e32 v[26:27], v[30:31], v[26:27]
	v_fma_f64 v[30:31], v[141:142], s[28:29], v[133:134]
	s_delay_alu instid0(VALU_DEP_1) | instskip(SKIP_1) | instid1(VALU_DEP_1)
	v_add_f64_e32 v[28:29], v[30:31], v[28:29]
	v_fma_f64 v[30:31], v[149:150], s[34:35], -v[135:136]
	v_add_f64_e32 v[26:27], v[30:31], v[26:27]
	v_fma_f64 v[30:31], v[153:154], s[34:35], v[165:166]
	s_delay_alu instid0(VALU_DEP_1)
	v_add_f64_e32 v[28:29], v[30:31], v[28:29]
	v_fma_f64 v[30:31], v[169:170], s[16:17], -v[167:168]
	s_wait_loadcnt 0x0
	v_add_f64_e32 v[107:108], v[107:108], v[0:1]
	scratch_load_b64 v[0:1], off, off offset:264 th:TH_LOAD_LU ; 8-byte Folded Reload
	v_add_f64_e32 v[26:27], v[30:31], v[26:27]
	v_fma_f64 v[30:31], v[173:174], s[16:17], v[177:178]
	v_add_f64_e32 v[107:108], v[111:112], v[107:108]
	v_fma_f64 v[111:112], v[125:126], s[18:19], v[115:116]
	v_fma_f64 v[115:116], v[109:110], s[30:31], v[113:114]
	v_fma_f64 v[113:114], v[109:110], s[30:31], -v[113:114]
	v_add_f64_e32 v[31:32], v[30:31], v[28:29]
	v_fma_f64 v[28:29], v[185:186], s[30:31], -v[179:180]
	v_add_f64_e32 v[24:25], v[111:112], v[24:25]
	v_fma_f64 v[111:112], v[129:130], s[18:19], -v[119:120]
	v_mul_f64_e32 v[119:120], s[48:49], v[181:182]
	v_add_f64_e32 v[115:116], v[115:116], v[6:7]
	v_mul_f64_e32 v[6:7], s[46:47], v[22:23]
	v_mul_f64_e32 v[22:23], s[52:53], v[22:23]
	v_add_f64_e32 v[29:30], v[28:29], v[26:27]
	v_mul_f64_e32 v[26:27], s[52:53], v[8:9]
	v_add_f64_e32 v[107:108], v[111:112], v[107:108]
	v_fma_f64 v[111:112], v[137:138], s[28:29], v[123:124]
	v_fma_f64 v[123:124], v[117:118], s[28:29], -v[119:120]
	s_delay_alu instid0(VALU_DEP_4) | instskip(SKIP_1) | instid1(VALU_DEP_4)
	v_fma_f64 v[127:128], v[189:190], s[30:31], v[26:27]
	v_fma_f64 v[27:28], v[189:190], s[30:31], -v[26:27]
	v_add_f64_e32 v[24:25], v[111:112], v[24:25]
	v_fma_f64 v[111:112], v[141:142], s[28:29], -v[133:134]
	s_delay_alu instid0(VALU_DEP_4) | instskip(NEXT) | instid1(VALU_DEP_2)
	v_add_f64_e32 v[31:32], v[127:128], v[31:32]
	v_add_f64_e32 v[107:108], v[111:112], v[107:108]
	v_fma_f64 v[111:112], v[149:150], s[34:35], v[135:136]
	s_delay_alu instid0(VALU_DEP_1) | instskip(SKIP_1) | instid1(VALU_DEP_1)
	v_add_f64_e32 v[24:25], v[111:112], v[24:25]
	v_fma_f64 v[111:112], v[153:154], s[34:35], -v[165:166]
	v_add_f64_e32 v[107:108], v[111:112], v[107:108]
	v_fma_f64 v[111:112], v[169:170], s[16:17], v[167:168]
	s_delay_alu instid0(VALU_DEP_1) | instskip(SKIP_1) | instid1(VALU_DEP_1)
	v_add_f64_e32 v[24:25], v[111:112], v[24:25]
	v_fma_f64 v[111:112], v[173:174], s[16:17], -v[177:178]
	v_add_f64_e32 v[107:108], v[111:112], v[107:108]
	v_fma_f64 v[111:112], v[185:186], s[30:31], v[179:180]
	s_delay_alu instid0(VALU_DEP_2) | instskip(SKIP_1) | instid1(VALU_DEP_3)
	v_add_f64_e32 v[27:28], v[27:28], v[107:108]
	v_mul_f64_e32 v[107:108], s[52:53], v[161:162]
	v_add_f64_e32 v[25:26], v[111:112], v[24:25]
	s_delay_alu instid0(VALU_DEP_2) | instskip(SKIP_2) | instid1(VALU_DEP_2)
	v_fma_f64 v[111:112], v[105:106], s[30:31], -v[107:108]
	v_fma_f64 v[107:108], v[105:106], s[30:31], v[107:108]
	s_wait_loadcnt 0x0
	v_add_f64_e32 v[111:112], v[111:112], v[0:1]
	v_mul_f64_e32 v[0:1], s[38:39], v[12:13]
	v_mul_f64_e32 v[12:13], s[60:61], v[12:13]
	s_delay_alu instid0(VALU_DEP_3) | instskip(SKIP_1) | instid1(VALU_DEP_1)
	v_add_f64_e32 v[111:112], v[123:124], v[111:112]
	v_mul_f64_e32 v[123:124], s[48:49], v[183:184]
	v_fma_f64 v[127:128], v[121:122], s[28:29], v[123:124]
	s_delay_alu instid0(VALU_DEP_1) | instskip(SKIP_1) | instid1(VALU_DEP_1)
	v_add_f64_e32 v[115:116], v[127:128], v[115:116]
	v_mul_f64_e32 v[127:128], s[64:65], v[193:194]
	v_fma_f64 v[133:134], v[125:126], s[24:25], -v[127:128]
	s_delay_alu instid0(VALU_DEP_1) | instskip(SKIP_1) | instid1(VALU_DEP_1)
	v_add_f64_e32 v[111:112], v[133:134], v[111:112]
	v_mul_f64_e32 v[133:134], s[64:65], v[195:196]
	v_fma_f64 v[135:136], v[129:130], s[24:25], v[133:134]
	s_delay_alu instid0(VALU_DEP_1) | instskip(SKIP_1) | instid1(VALU_DEP_1)
	v_add_f64_e32 v[115:116], v[135:136], v[115:116]
	v_mul_f64_e32 v[135:136], s[44:45], v[225:226]
	v_fma_f64 v[165:166], v[137:138], s[36:37], -v[135:136]
	s_delay_alu instid0(VALU_DEP_1) | instskip(SKIP_1) | instid1(VALU_DEP_1)
	v_add_f64_e32 v[111:112], v[165:166], v[111:112]
	v_mul_f64_e32 v[165:166], s[44:45], v[227:228]
	v_fma_f64 v[167:168], v[141:142], s[36:37], v[165:166]
	s_delay_alu instid0(VALU_DEP_1) | instskip(SKIP_2) | instid1(VALU_DEP_2)
	v_add_f64_e32 v[115:116], v[167:168], v[115:116]
	v_mul_f64_e32 v[167:168], s[46:47], v[43:44]
	v_mul_f64_e32 v[43:44], s[52:53], v[43:44]
	v_fma_f64 v[177:178], v[149:150], s[16:17], -v[167:168]
	s_delay_alu instid0(VALU_DEP_1) | instskip(SKIP_2) | instid1(VALU_DEP_2)
	v_add_f64_e32 v[111:112], v[177:178], v[111:112]
	v_fma_f64 v[177:178], v[153:154], s[16:17], v[6:7]
	v_fma_f64 v[6:7], v[153:154], s[16:17], -v[6:7]
	v_add_f64_e32 v[115:116], v[177:178], v[115:116]
	v_fma_f64 v[177:178], v[169:170], s[34:35], -v[4:5]
	v_fma_f64 v[4:5], v[169:170], s[34:35], v[4:5]
	s_delay_alu instid0(VALU_DEP_2) | instskip(SKIP_2) | instid1(VALU_DEP_2)
	v_add_f64_e32 v[111:112], v[177:178], v[111:112]
	v_fma_f64 v[177:178], v[173:174], s[34:35], v[2:3]
	v_fma_f64 v[2:3], v[173:174], s[34:35], -v[2:3]
	v_add_f64_e32 v[115:116], v[177:178], v[115:116]
	v_fma_f64 v[177:178], v[185:186], s[26:27], -v[0:1]
	v_fma_f64 v[0:1], v[185:186], s[26:27], v[0:1]
	s_delay_alu instid0(VALU_DEP_2) | instskip(SKIP_2) | instid1(VALU_DEP_2)
	v_add_f64_e32 v[177:178], v[177:178], v[111:112]
	v_mul_f64_e32 v[111:112], s[38:39], v[8:9]
	v_mul_f64_e32 v[8:9], s[60:61], v[8:9]
	v_fma_f64 v[179:180], v[189:190], s[26:27], v[111:112]
	s_delay_alu instid0(VALU_DEP_1)
	v_add_f64_e32 v[179:180], v[179:180], v[115:116]
	scratch_load_b64 v[115:116], off, off offset:256 th:TH_LOAD_LU ; 8-byte Folded Reload
	s_wait_loadcnt 0x0
	v_add_f64_e32 v[107:108], v[107:108], v[115:116]
	scratch_load_b64 v[115:116], off, off offset:248 th:TH_LOAD_LU ; 8-byte Folded Reload
	s_wait_loadcnt 0x0
	v_add_f64_e32 v[113:114], v[113:114], v[115:116]
	v_fma_f64 v[115:116], v[117:118], s[28:29], v[119:120]
	s_delay_alu instid0(VALU_DEP_1) | instskip(SKIP_1) | instid1(VALU_DEP_1)
	v_add_f64_e32 v[107:108], v[115:116], v[107:108]
	v_fma_f64 v[115:116], v[121:122], s[28:29], -v[123:124]
	v_add_f64_e32 v[113:114], v[115:116], v[113:114]
	v_fma_f64 v[115:116], v[125:126], s[24:25], v[127:128]
	s_delay_alu instid0(VALU_DEP_1) | instskip(SKIP_1) | instid1(VALU_DEP_1)
	v_add_f64_e32 v[107:108], v[115:116], v[107:108]
	v_fma_f64 v[115:116], v[129:130], s[24:25], -v[133:134]
	;; [unrolled: 5-line block ×3, first 2 shown]
	v_add_f64_e32 v[113:114], v[115:116], v[113:114]
	v_fma_f64 v[115:116], v[149:150], s[16:17], v[167:168]
	s_delay_alu instid0(VALU_DEP_2) | instskip(NEXT) | instid1(VALU_DEP_2)
	v_add_f64_e32 v[6:7], v[6:7], v[113:114]
	v_add_f64_e32 v[107:108], v[115:116], v[107:108]
	s_delay_alu instid0(VALU_DEP_2) | instskip(SKIP_1) | instid1(VALU_DEP_3)
	v_add_f64_e32 v[2:3], v[2:3], v[6:7]
	v_fma_f64 v[6:7], v[189:190], s[26:27], -v[111:112]
	v_add_f64_e32 v[4:5], v[4:5], v[107:108]
	scratch_load_b64 v[107:108], off, off offset:216 th:TH_LOAD_LU ; 8-byte Folded Reload
	v_add_f64_e32 v[167:168], v[6:7], v[2:3]
	scratch_load_b64 v[2:3], off, off offset:224 th:TH_LOAD_LU ; 8-byte Folded Reload
	v_add_f64_e32 v[165:166], v[0:1], v[4:5]
	v_mul_f64_e32 v[4:5], s[54:55], v[161:162]
	v_mul_f64_e32 v[6:7], s[54:55], v[163:164]
	s_delay_alu instid0(VALU_DEP_2) | instskip(SKIP_2) | instid1(VALU_DEP_2)
	v_fma_f64 v[0:1], v[105:106], s[36:37], -v[4:5]
	v_fma_f64 v[4:5], v[105:106], s[36:37], v[4:5]
	s_wait_loadcnt 0x0
	v_add_f64_e32 v[0:1], v[0:1], v[2:3]
	s_delay_alu instid0(VALU_DEP_4) | instskip(SKIP_1) | instid1(VALU_DEP_2)
	v_fma_f64 v[2:3], v[109:110], s[36:37], v[6:7]
	v_fma_f64 v[6:7], v[109:110], s[36:37], -v[6:7]
	v_add_f64_e32 v[2:3], v[2:3], v[107:108]
	v_mul_f64_e32 v[107:108], s[42:43], v[181:182]
	s_delay_alu instid0(VALU_DEP_1) | instskip(SKIP_1) | instid1(VALU_DEP_2)
	v_fma_f64 v[111:112], v[117:118], s[18:19], -v[107:108]
	v_fma_f64 v[107:108], v[117:118], s[18:19], v[107:108]
	v_add_f64_e32 v[0:1], v[111:112], v[0:1]
	v_mul_f64_e32 v[111:112], s[42:43], v[183:184]
	s_delay_alu instid0(VALU_DEP_1) | instskip(NEXT) | instid1(VALU_DEP_1)
	v_fma_f64 v[113:114], v[121:122], s[18:19], v[111:112]
	v_add_f64_e32 v[2:3], v[113:114], v[2:3]
	v_mul_f64_e32 v[113:114], s[56:57], v[193:194]
	s_delay_alu instid0(VALU_DEP_1) | instskip(NEXT) | instid1(VALU_DEP_1)
	v_fma_f64 v[115:116], v[125:126], s[34:35], -v[113:114]
	v_add_f64_e32 v[0:1], v[115:116], v[0:1]
	v_mul_f64_e32 v[115:116], s[56:57], v[195:196]
	s_delay_alu instid0(VALU_DEP_1) | instskip(NEXT) | instid1(VALU_DEP_1)
	v_fma_f64 v[119:120], v[129:130], s[34:35], v[115:116]
	v_add_f64_e32 v[2:3], v[119:120], v[2:3]
	v_mul_f64_e32 v[119:120], s[40:41], v[225:226]
	s_delay_alu instid0(VALU_DEP_1) | instskip(NEXT) | instid1(VALU_DEP_1)
	v_fma_f64 v[123:124], v[137:138], s[24:25], -v[119:120]
	v_add_f64_e32 v[0:1], v[123:124], v[0:1]
	v_mul_f64_e32 v[123:124], s[40:41], v[227:228]
	s_delay_alu instid0(VALU_DEP_1) | instskip(NEXT) | instid1(VALU_DEP_1)
	v_fma_f64 v[127:128], v[141:142], s[24:25], v[123:124]
	v_add_f64_e32 v[2:3], v[127:128], v[2:3]
	v_fma_f64 v[127:128], v[149:150], s[30:31], -v[43:44]
	v_fma_f64 v[43:44], v[149:150], s[30:31], v[43:44]
	s_delay_alu instid0(VALU_DEP_2) | instskip(SKIP_2) | instid1(VALU_DEP_2)
	v_add_f64_e32 v[0:1], v[127:128], v[0:1]
	v_fma_f64 v[127:128], v[153:154], s[30:31], v[22:23]
	v_fma_f64 v[22:23], v[153:154], s[30:31], -v[22:23]
	v_add_f64_e32 v[2:3], v[127:128], v[2:3]
	v_fma_f64 v[127:128], v[169:170], s[26:27], -v[20:21]
	v_fma_f64 v[20:21], v[169:170], s[26:27], v[20:21]
	s_delay_alu instid0(VALU_DEP_2) | instskip(SKIP_2) | instid1(VALU_DEP_2)
	v_add_f64_e32 v[0:1], v[127:128], v[0:1]
	v_fma_f64 v[127:128], v[173:174], s[26:27], v[14:15]
	v_fma_f64 v[14:15], v[173:174], s[26:27], -v[14:15]
	;; [unrolled: 7-line block ×3, first 2 shown]
	v_add_f64_e32 v[2:3], v[127:128], v[2:3]
	scratch_load_b64 v[127:128], off, off offset:208 th:TH_LOAD_LU ; 8-byte Folded Reload
	s_wait_loadcnt 0x0
	v_add_f64_e32 v[4:5], v[4:5], v[127:128]
	scratch_load_b64 v[127:128], off, off offset:200 th:TH_LOAD_LU ; 8-byte Folded Reload
	v_add_f64_e32 v[4:5], v[107:108], v[4:5]
	v_fma_f64 v[107:108], v[121:122], s[18:19], -v[111:112]
	s_wait_loadcnt 0x0
	v_add_f64_e32 v[6:7], v[6:7], v[127:128]
	s_delay_alu instid0(VALU_DEP_1) | instskip(SKIP_1) | instid1(VALU_DEP_1)
	v_add_f64_e32 v[6:7], v[107:108], v[6:7]
	v_fma_f64 v[107:108], v[125:126], s[34:35], v[113:114]
	v_add_f64_e32 v[4:5], v[107:108], v[4:5]
	v_fma_f64 v[107:108], v[129:130], s[34:35], -v[115:116]
	s_delay_alu instid0(VALU_DEP_1) | instskip(SKIP_1) | instid1(VALU_DEP_1)
	v_add_f64_e32 v[6:7], v[107:108], v[6:7]
	v_fma_f64 v[107:108], v[137:138], s[24:25], v[119:120]
	v_add_f64_e32 v[4:5], v[107:108], v[4:5]
	v_fma_f64 v[107:108], v[141:142], s[24:25], -v[123:124]
	s_delay_alu instid0(VALU_DEP_2) | instskip(NEXT) | instid1(VALU_DEP_2)
	v_add_f64_e32 v[4:5], v[43:44], v[4:5]
	v_add_f64_e32 v[6:7], v[107:108], v[6:7]
	s_delay_alu instid0(VALU_DEP_2) | instskip(NEXT) | instid1(VALU_DEP_2)
	v_add_f64_e32 v[4:5], v[20:21], v[4:5]
	v_add_f64_e32 v[6:7], v[22:23], v[6:7]
	v_fma_f64 v[20:21], v[141:142], s[26:27], v[143:144]
	v_fma_f64 v[22:23], v[173:174], s[18:19], v[175:176]
	s_delay_alu instid0(VALU_DEP_4) | instskip(NEXT) | instid1(VALU_DEP_4)
	v_add_f64_e32 v[4:5], v[12:13], v[4:5]
	v_add_f64_e32 v[6:7], v[14:15], v[6:7]
	scratch_load_b64 v[12:13], off, off offset:168 th:TH_LOAD_LU ; 8-byte Folded Reload
	v_fma_f64 v[14:15], v[189:190], s[34:35], -v[53:54]
	v_add_f64_e32 v[6:7], v[8:9], v[6:7]
	v_fma_f64 v[8:9], v[105:106], s[16:17], v[10:11]
	scratch_load_b64 v[10:11], off, off offset:176 th:TH_LOAD_LU ; 8-byte Folded Reload
	s_wait_loadcnt 0x0
	v_add_f64_e32 v[8:9], v[8:9], v[10:11]
	v_fma_f64 v[10:11], v[109:110], s[16:17], -v[33:34]
	s_delay_alu instid0(VALU_DEP_1) | instskip(SKIP_1) | instid1(VALU_DEP_1)
	v_add_f64_e32 v[10:11], v[10:11], v[12:13]
	v_fma_f64 v[12:13], v[117:118], s[26:27], v[35:36]
	v_add_f64_e32 v[8:9], v[12:13], v[8:9]
	v_fma_f64 v[12:13], v[121:122], s[26:27], -v[45:46]
	s_delay_alu instid0(VALU_DEP_1) | instskip(SKIP_1) | instid1(VALU_DEP_1)
	v_add_f64_e32 v[10:11], v[12:13], v[10:11]
	v_fma_f64 v[12:13], v[125:126], s[36:37], v[47:48]
	;; [unrolled: 5-line block ×5, first 2 shown]
	v_add_f64_e32 v[8:9], v[12:13], v[8:9]
	v_fma_f64 v[12:13], v[173:174], s[24:25], -v[60:61]
	s_delay_alu instid0(VALU_DEP_1) | instskip(SKIP_1) | instid1(VALU_DEP_2)
	v_add_f64_e32 v[10:11], v[12:13], v[10:11]
	v_fma_f64 v[12:13], v[185:186], s[34:35], v[58:59]
	v_add_f64_e32 v[135:136], v[14:15], v[10:11]
	scratch_load_b64 v[10:11], off, off offset:88 th:TH_LOAD_LU ; 8-byte Folded Reload
	v_add_f64_e32 v[133:134], v[12:13], v[8:9]
	scratch_load_b64 v[12:13], off, off offset:80 th:TH_LOAD_LU ; 8-byte Folded Reload
	v_fma_f64 v[8:9], v[105:106], s[24:25], v[229:230]
	v_fma_f64 v[14:15], v[189:190], s[18:19], -v[62:63]
	s_wait_loadcnt 0x1
	s_delay_alu instid0(VALU_DEP_2) | instskip(SKIP_2) | instid1(VALU_DEP_1)
	v_add_f64_e32 v[8:9], v[8:9], v[10:11]
	v_fma_f64 v[10:11], v[109:110], s[24:25], -v[231:232]
	s_wait_loadcnt 0x0
	v_add_f64_e32 v[10:11], v[10:11], v[12:13]
	v_fma_f64 v[12:13], v[117:118], s[16:17], v[233:234]
	s_delay_alu instid0(VALU_DEP_1) | instskip(SKIP_1) | instid1(VALU_DEP_1)
	v_add_f64_e32 v[8:9], v[12:13], v[8:9]
	v_fma_f64 v[12:13], v[121:122], s[16:17], -v[235:236]
	v_add_f64_e32 v[10:11], v[12:13], v[10:11]
	v_fma_f64 v[12:13], v[125:126], s[26:27], v[237:238]
	s_delay_alu instid0(VALU_DEP_1) | instskip(SKIP_1) | instid1(VALU_DEP_1)
	v_add_f64_e32 v[8:9], v[12:13], v[8:9]
	v_fma_f64 v[12:13], v[129:130], s[26:27], -v[239:240]
	;; [unrolled: 5-line block ×5, first 2 shown]
	v_add_f64_e32 v[10:11], v[12:13], v[10:11]
	v_fma_f64 v[12:13], v[185:186], s[18:19], v[253:254]
	s_delay_alu instid0(VALU_DEP_2)
	v_add_f64_e32 v[115:116], v[14:15], v[10:11]
	scratch_load_b64 v[10:11], off, off offset:56 th:TH_LOAD_LU ; 8-byte Folded Reload
	v_add_f64_e32 v[113:114], v[12:13], v[8:9]
	scratch_load_b64 v[12:13], off, off offset:48 th:TH_LOAD_LU ; 8-byte Folded Reload
	v_fma_f64 v[8:9], v[105:106], s[28:29], v[197:198]
	v_fma_f64 v[14:15], v[189:190], s[36:37], -v[223:224]
	s_wait_loadcnt 0x1
	s_delay_alu instid0(VALU_DEP_2) | instskip(SKIP_2) | instid1(VALU_DEP_1)
	v_add_f64_e32 v[8:9], v[8:9], v[10:11]
	v_fma_f64 v[10:11], v[109:110], s[28:29], -v[66:67]
	s_wait_loadcnt 0x0
	v_add_f64_e32 v[10:11], v[10:11], v[12:13]
	v_fma_f64 v[12:13], v[117:118], s[24:25], v[64:65]
	s_delay_alu instid0(VALU_DEP_1) | instskip(SKIP_1) | instid1(VALU_DEP_1)
	v_add_f64_e32 v[8:9], v[12:13], v[8:9]
	v_fma_f64 v[12:13], v[121:122], s[24:25], -v[203:204]
	v_add_f64_e32 v[10:11], v[12:13], v[10:11]
	v_fma_f64 v[12:13], v[125:126], s[16:17], v[205:206]
	s_delay_alu instid0(VALU_DEP_1) | instskip(SKIP_1) | instid1(VALU_DEP_1)
	v_add_f64_e32 v[8:9], v[12:13], v[8:9]
	v_fma_f64 v[12:13], v[129:130], s[16:17], -v[207:208]
	v_add_f64_e32 v[10:11], v[12:13], v[10:11]
	v_fma_f64 v[12:13], v[137:138], s[18:19], v[209:210]
	s_delay_alu instid0(VALU_DEP_1) | instskip(SKIP_1) | instid1(VALU_DEP_1)
	v_add_f64_e32 v[8:9], v[12:13], v[8:9]
	v_fma_f64 v[12:13], v[141:142], s[18:19], -v[211:212]
	v_add_f64_e32 v[10:11], v[12:13], v[10:11]
	v_fma_f64 v[12:13], v[149:150], s[26:27], v[213:214]
	s_delay_alu instid0(VALU_DEP_1) | instskip(SKIP_1) | instid1(VALU_DEP_1)
	v_add_f64_e32 v[8:9], v[12:13], v[8:9]
	v_fma_f64 v[12:13], v[153:154], s[26:27], -v[215:216]
	v_add_f64_e32 v[10:11], v[12:13], v[10:11]
	v_fma_f64 v[12:13], v[169:170], s[30:31], v[217:218]
	s_delay_alu instid0(VALU_DEP_1) | instskip(SKIP_1) | instid1(VALU_DEP_1)
	v_add_f64_e32 v[8:9], v[12:13], v[8:9]
	v_fma_f64 v[12:13], v[173:174], s[30:31], -v[219:220]
	v_add_f64_e32 v[10:11], v[12:13], v[10:11]
	v_fma_f64 v[12:13], v[185:186], s[36:37], v[221:222]
	s_delay_alu instid0(VALU_DEP_2) | instskip(NEXT) | instid1(VALU_DEP_2)
	v_add_f64_e32 v[35:36], v[14:15], v[10:11]
	v_add_f64_e32 v[33:34], v[12:13], v[8:9]
	s_clause 0x3
	scratch_load_b64 v[8:9], off, off offset:64 th:TH_LOAD_LU
	scratch_load_b64 v[10:11], off, off offset:72 th:TH_LOAD_LU
	;; [unrolled: 1-line block ×4, first 2 shown]
	s_wait_loadcnt 0x3
	v_fma_f64 v[8:9], v[105:106], s[34:35], -v[8:9]
	s_wait_loadcnt 0x2
	v_fma_f64 v[10:11], v[109:110], s[34:35], v[10:11]
	s_wait_loadcnt 0x1
	s_delay_alu instid0(VALU_DEP_2)
	v_add_f64_e32 v[8:9], v[8:9], v[12:13]
	scratch_load_b64 v[12:13], off, off offset:112 th:TH_LOAD_LU ; 8-byte Folded Reload
	s_wait_loadcnt 0x1
	v_add_f64_e32 v[10:11], v[10:11], v[14:15]
	scratch_load_b64 v[14:15], off, off offset:120 th:TH_LOAD_LU ; 8-byte Folded Reload
	s_wait_loadcnt 0x1
	v_fma_f64 v[12:13], v[117:118], s[30:31], -v[12:13]
	s_wait_loadcnt 0x0
	v_fma_f64 v[14:15], v[121:122], s[30:31], v[14:15]
	s_delay_alu instid0(VALU_DEP_2)
	v_add_f64_e32 v[8:9], v[12:13], v[8:9]
	scratch_load_b64 v[12:13], off, off offset:144 th:TH_LOAD_LU ; 8-byte Folded Reload
	v_add_f64_e32 v[10:11], v[14:15], v[10:11]
	v_fma_f64 v[14:15], v[129:130], s[28:29], v[131:132]
	global_wb scope:SCOPE_SE
	s_wait_loadcnt 0x0
	s_wait_storecnt 0x0
	s_barrier_signal -1
	s_barrier_wait -1
	global_inv scope:SCOPE_SE
	ds_store_b128 v57, v[199:202] offset:544
	ds_store_b128 v57, v[101:104] offset:816
	;; [unrolled: 1-line block ×6, first 2 shown]
	v_add_f64_e32 v[10:11], v[14:15], v[10:11]
	v_fma_f64 v[14:15], v[153:154], s[24:25], v[155:156]
	s_delay_alu instid0(VALU_DEP_2) | instskip(SKIP_1) | instid1(VALU_DEP_2)
	v_add_f64_e32 v[10:11], v[20:21], v[10:11]
	v_fma_f64 v[20:21], v[169:170], s[18:19], -v[171:172]
	v_add_f64_e32 v[10:11], v[14:15], v[10:11]
	v_fma_f64 v[14:15], v[189:190], s[16:17], v[191:192]
	s_delay_alu instid0(VALU_DEP_2) | instskip(NEXT) | instid1(VALU_DEP_1)
	v_add_f64_e32 v[10:11], v[22:23], v[10:11]
	v_add_f64_e32 v[107:108], v[14:15], v[10:11]
	v_fma_f64 v[12:13], v[125:126], s[28:29], -v[12:13]
	s_delay_alu instid0(VALU_DEP_1) | instskip(SKIP_1) | instid1(VALU_DEP_1)
	v_add_f64_e32 v[8:9], v[12:13], v[8:9]
	v_fma_f64 v[12:13], v[137:138], s[26:27], -v[139:140]
	v_add_f64_e32 v[8:9], v[12:13], v[8:9]
	v_fma_f64 v[12:13], v[149:150], s[24:25], -v[151:152]
	s_delay_alu instid0(VALU_DEP_1) | instskip(SKIP_1) | instid1(VALU_DEP_2)
	v_add_f64_e32 v[8:9], v[12:13], v[8:9]
	v_fma_f64 v[12:13], v[185:186], s[16:17], -v[187:188]
	v_add_f64_e32 v[8:9], v[20:21], v[8:9]
	s_delay_alu instid0(VALU_DEP_1)
	v_add_f64_e32 v[105:106], v[12:13], v[8:9]
	s_clause 0x1
	scratch_load_b64 v[8:9], off, off th:TH_LOAD_LU
	scratch_load_b64 v[10:11], off, off offset:32 th:TH_LOAD_LU
	s_wait_loadcnt 0x0
	v_add_f64_e32 v[8:9], v[8:9], v[10:11]
	s_clause 0x1
	scratch_load_b64 v[10:11], off, off offset:8 th:TH_LOAD_LU
	scratch_load_b64 v[12:13], off, off offset:40 th:TH_LOAD_LU
	ds_store_b128 v57, v[0:3] offset:2176
	v_mul_hi_u32 v0, 0x24924925, v255
	s_delay_alu instid0(VALU_DEP_1) | instskip(NEXT) | instid1(VALU_DEP_1)
	v_mul_u32_u24_e32 v1, 7, v0
	v_sub_nc_u32_e32 v1, v255, v1
	s_delay_alu instid0(VALU_DEP_1) | instskip(NEXT) | instid1(VALU_DEP_1)
	v_add_nc_u32_e32 v2, s4, v1
	v_cmp_gt_u32_e32 vcc_lo, s6, v2
	s_or_b32 s5, s5, vcc_lo
	s_wait_loadcnt 0x0
	v_add_f64_e32 v[10:11], v[10:11], v[12:13]
	scratch_load_b64 v[12:13], off, off offset:96 th:TH_LOAD_LU ; 8-byte Folded Reload
	s_wait_loadcnt 0x0
	v_add_f64_e32 v[8:9], v[8:9], v[12:13]
	scratch_load_b64 v[12:13], off, off offset:104 th:TH_LOAD_LU ; 8-byte Folded Reload
	s_wait_loadcnt 0x0
	v_add_f64_e32 v[10:11], v[10:11], v[12:13]
	scratch_load_b64 v[12:13], off, off offset:128 th:TH_LOAD_LU ; 8-byte Folded Reload
	s_wait_loadcnt 0x0
	v_add_f64_e32 v[8:9], v[8:9], v[12:13]
	scratch_load_b64 v[12:13], off, off offset:136 th:TH_LOAD_LU ; 8-byte Folded Reload
	s_wait_loadcnt 0x0
	v_add_f64_e32 v[10:11], v[10:11], v[12:13]
	scratch_load_b64 v[12:13], off, off offset:152 th:TH_LOAD_LU ; 8-byte Folded Reload
	s_wait_loadcnt 0x0
	v_add_f64_e32 v[8:9], v[8:9], v[12:13]
	scratch_load_b64 v[12:13], off, off offset:160 th:TH_LOAD_LU ; 8-byte Folded Reload
	s_wait_loadcnt 0x0
	v_add_f64_e32 v[10:11], v[10:11], v[12:13]
	scratch_load_b64 v[12:13], off, off offset:184 th:TH_LOAD_LU ; 8-byte Folded Reload
	s_wait_loadcnt 0x0
	v_add_f64_e32 v[8:9], v[8:9], v[12:13]
	scratch_load_b64 v[12:13], off, off offset:192 th:TH_LOAD_LU ; 8-byte Folded Reload
	s_wait_loadcnt 0x0
	v_add_f64_e32 v[10:11], v[10:11], v[12:13]
	scratch_load_b64 v[12:13], off, off offset:232 th:TH_LOAD_LU ; 8-byte Folded Reload
	s_wait_loadcnt 0x0
	v_add_f64_e32 v[8:9], v[8:9], v[12:13]
	scratch_load_b64 v[12:13], off, off offset:240 th:TH_LOAD_LU ; 8-byte Folded Reload
	s_wait_loadcnt 0x0
	v_add_f64_e32 v[10:11], v[10:11], v[12:13]
	scratch_load_b64 v[12:13], off, off offset:304 th:TH_LOAD_LU ; 8-byte Folded Reload
	s_wait_loadcnt 0x0
	v_add_f64_e32 v[8:9], v[8:9], v[12:13]
	scratch_load_b64 v[12:13], off, off offset:312 th:TH_LOAD_LU ; 8-byte Folded Reload
	s_wait_loadcnt 0x0
	v_add_f64_e32 v[10:11], v[10:11], v[12:13]
	scratch_load_b64 v[12:13], off, off offset:288 th:TH_LOAD_LU ; 8-byte Folded Reload
	s_wait_loadcnt 0x0
	v_add_f64_e32 v[8:9], v[8:9], v[12:13]
	scratch_load_b64 v[12:13], off, off offset:296 th:TH_LOAD_LU ; 8-byte Folded Reload
	v_add_f64_e32 v[8:9], v[8:9], v[99:100]
	s_delay_alu instid0(VALU_DEP_1) | instskip(NEXT) | instid1(VALU_DEP_1)
	v_add_f64_e32 v[8:9], v[8:9], v[69:70]
	v_add_f64_e32 v[8:9], v[8:9], v[75:76]
	s_delay_alu instid0(VALU_DEP_1) | instskip(NEXT) | instid1(VALU_DEP_1)
	v_add_f64_e32 v[8:9], v[8:9], v[81:82]
	;; [unrolled: 3-line block ×3, first 2 shown]
	v_add_f64_e32 v[8:9], v[8:9], v[79:80]
	s_wait_loadcnt 0x0
	v_add_f64_e32 v[10:11], v[10:11], v[12:13]
	s_delay_alu instid0(VALU_DEP_1) | instskip(NEXT) | instid1(VALU_DEP_1)
	v_add_f64_e32 v[10:11], v[10:11], v[97:98]
	v_add_f64_e32 v[10:11], v[10:11], v[71:72]
	s_delay_alu instid0(VALU_DEP_1) | instskip(NEXT) | instid1(VALU_DEP_1)
	v_add_f64_e32 v[10:11], v[10:11], v[77:78]
	;; [unrolled: 3-line block ×3, first 2 shown]
	v_add_f64_e32 v[10:11], v[10:11], v[91:92]
	s_delay_alu instid0(VALU_DEP_1)
	v_add_f64_e32 v[10:11], v[10:11], v[73:74]
	ds_store_b128 v57, v[4:7] offset:2448
	ds_store_b128 v57, v[165:168] offset:2720
	;; [unrolled: 1-line block ×9, first 2 shown]
	ds_store_b128 v57, v[8:11]
	global_wb scope:SCOPE_SE
	s_wait_dscnt 0x0
	s_barrier_signal -1
	s_barrier_wait -1
	global_inv scope:SCOPE_SE
	s_wait_alu 0xfffe
	s_and_saveexec_b32 s6, s5
	s_cbranch_execz .LBB0_12
; %bb.11:
	s_load_b64 s[6:7], s[0:1], 0x60
	v_mad_co_u64_u32 v[2:3], null, s8, v1, 0
	s_mov_b32 s5, s3
	v_mul_lo_u32 v20, v0, s10
	s_wait_alu 0xfffe
	s_mul_u64 s[4:5], s[8:9], s[4:5]
	s_mul_i32 s2, s2, s22
	s_wait_alu 0xfffe
	s_lshl_b64 s[4:5], s[4:5], 4
	s_mul_u64 s[12:13], s[14:15], s[20:21]
	v_mad_co_u64_u32 v[3:4], null, s9, v1, v[3:4]
	v_dual_mov_b32 v21, 0 :: v_dual_lshlrev_b32 v0, 4, v0
	s_lshl_b64 s[2:3], s[2:3], 4
	s_lshl_b64 s[8:9], s[12:13], 4
	v_mul_i32_i24_e32 v1, 0x1210, v1
	s_delay_alu instid0(VALU_DEP_2) | instskip(NEXT) | instid1(VALU_DEP_4)
	v_lshlrev_b64_e32 v[8:9], 4, v[20:21]
	v_lshlrev_b64_e32 v[10:11], 4, v[2:3]
	s_mul_i32 s0, s10, 17
	s_delay_alu instid0(VALU_DEP_3)
	v_add3_u32 v28, 0, v1, v0
	s_wait_kmcnt 0x0
	s_wait_alu 0xfffe
	s_add_nc_u64 s[4:5], s[6:7], s[4:5]
	v_add_nc_u32_e32 v20, s0, v20
	s_wait_alu 0xfffe
	s_add_nc_u64 s[2:3], s[4:5], s[2:3]
	ds_load_b128 v[0:3], v28
	ds_load_b128 v[4:7], v28 offset:272
	s_wait_alu 0xfffe
	s_add_nc_u64 s[2:3], s[2:3], s[8:9]
	v_lshlrev_b64_e32 v[16:17], 4, v[20:21]
	s_wait_alu 0xfffe
	v_add_co_u32 v30, vcc_lo, s2, v10
	s_wait_alu 0xfffd
	v_add_co_ci_u32_e32 v31, vcc_lo, s3, v11, vcc_lo
	v_add_nc_u32_e32 v20, s0, v20
	s_delay_alu instid0(VALU_DEP_3) | instskip(SKIP_1) | instid1(VALU_DEP_3)
	v_add_co_u32 v18, vcc_lo, v30, v8
	s_wait_alu 0xfffd
	v_add_co_ci_u32_e32 v19, vcc_lo, v31, v9, vcc_lo
	ds_load_b128 v[8:11], v28 offset:544
	ds_load_b128 v[12:15], v28 offset:816
	v_lshlrev_b64_e32 v[22:23], 4, v[20:21]
	v_add_nc_u32_e32 v20, s0, v20
	v_add_co_u32 v16, vcc_lo, v30, v16
	s_wait_alu 0xfffd
	v_add_co_ci_u32_e32 v17, vcc_lo, v31, v17, vcc_lo
	s_delay_alu instid0(VALU_DEP_3) | instskip(SKIP_4) | instid1(VALU_DEP_4)
	v_lshlrev_b64_e32 v[24:25], 4, v[20:21]
	v_add_nc_u32_e32 v20, s0, v20
	v_add_co_u32 v22, vcc_lo, v30, v22
	s_wait_alu 0xfffd
	v_add_co_ci_u32_e32 v23, vcc_lo, v31, v23, vcc_lo
	v_add_co_u32 v24, vcc_lo, v30, v24
	v_lshlrev_b64_e32 v[26:27], 4, v[20:21]
	v_add_nc_u32_e32 v20, s0, v20
	s_wait_alu 0xfffd
	v_add_co_ci_u32_e32 v25, vcc_lo, v31, v25, vcc_lo
	s_wait_dscnt 0x3
	global_store_b128 v[18:19], v[0:3], off
	s_wait_dscnt 0x2
	global_store_b128 v[16:17], v[4:7], off
	;; [unrolled: 2-line block ×4, first 2 shown]
	v_lshlrev_b64_e32 v[16:17], 4, v[20:21]
	v_add_nc_u32_e32 v20, s0, v20
	ds_load_b128 v[0:3], v28 offset:1088
	ds_load_b128 v[4:7], v28 offset:1360
	;; [unrolled: 1-line block ×4, first 2 shown]
	v_add_co_u32 v18, vcc_lo, v30, v26
	v_lshlrev_b64_e32 v[22:23], 4, v[20:21]
	v_add_nc_u32_e32 v20, s0, v20
	s_wait_alu 0xfffd
	v_add_co_ci_u32_e32 v19, vcc_lo, v31, v27, vcc_lo
	v_add_co_u32 v16, vcc_lo, v30, v16
	s_delay_alu instid0(VALU_DEP_3)
	v_lshlrev_b64_e32 v[24:25], 4, v[20:21]
	v_add_nc_u32_e32 v20, s0, v20
	s_wait_alu 0xfffd
	v_add_co_ci_u32_e32 v17, vcc_lo, v31, v17, vcc_lo
	v_add_co_u32 v22, vcc_lo, v30, v22
	s_wait_alu 0xfffd
	v_add_co_ci_u32_e32 v23, vcc_lo, v31, v23, vcc_lo
	v_add_co_u32 v24, vcc_lo, v30, v24
	v_lshlrev_b64_e32 v[26:27], 4, v[20:21]
	v_add_nc_u32_e32 v20, s0, v20
	s_wait_alu 0xfffd
	v_add_co_ci_u32_e32 v25, vcc_lo, v31, v25, vcc_lo
	s_wait_dscnt 0x3
	global_store_b128 v[18:19], v[0:3], off
	s_wait_dscnt 0x2
	global_store_b128 v[16:17], v[4:7], off
	;; [unrolled: 2-line block ×4, first 2 shown]
	ds_load_b128 v[0:3], v28 offset:2176
	ds_load_b128 v[4:7], v28 offset:2448
	v_lshlrev_b64_e32 v[16:17], 4, v[20:21]
	v_add_nc_u32_e32 v20, s0, v20
	ds_load_b128 v[8:11], v28 offset:2720
	ds_load_b128 v[12:15], v28 offset:2992
	v_add_co_u32 v18, vcc_lo, v30, v26
	s_wait_alu 0xfffd
	v_add_co_ci_u32_e32 v19, vcc_lo, v31, v27, vcc_lo
	v_lshlrev_b64_e32 v[22:23], 4, v[20:21]
	v_add_nc_u32_e32 v20, s0, v20
	v_add_co_u32 v16, vcc_lo, v30, v16
	s_wait_alu 0xfffd
	v_add_co_ci_u32_e32 v17, vcc_lo, v31, v17, vcc_lo
	s_delay_alu instid0(VALU_DEP_3) | instskip(SKIP_4) | instid1(VALU_DEP_3)
	v_lshlrev_b64_e32 v[24:25], 4, v[20:21]
	v_add_nc_u32_e32 v20, s0, v20
	v_add_co_u32 v22, vcc_lo, v30, v22
	s_wait_alu 0xfffd
	v_add_co_ci_u32_e32 v23, vcc_lo, v31, v23, vcc_lo
	v_lshlrev_b64_e32 v[26:27], 4, v[20:21]
	v_add_nc_u32_e32 v20, s0, v20
	v_add_co_u32 v24, vcc_lo, v30, v24
	s_wait_alu 0xfffd
	v_add_co_ci_u32_e32 v25, vcc_lo, v31, v25, vcc_lo
	s_wait_dscnt 0x3
	global_store_b128 v[18:19], v[0:3], off
	s_wait_dscnt 0x2
	global_store_b128 v[16:17], v[4:7], off
	;; [unrolled: 2-line block ×4, first 2 shown]
	v_lshlrev_b64_e32 v[8:9], 4, v[20:21]
	v_add_co_u32 v22, vcc_lo, v30, v26
	v_add_nc_u32_e32 v20, s0, v20
	s_wait_alu 0xfffd
	v_add_co_ci_u32_e32 v23, vcc_lo, v31, v27, vcc_lo
	s_delay_alu instid0(VALU_DEP_4)
	v_add_co_u32 v26, vcc_lo, v30, v8
	ds_load_b128 v[0:3], v28 offset:3264
	ds_load_b128 v[4:7], v28 offset:3536
	s_wait_alu 0xfffd
	v_add_co_ci_u32_e32 v27, vcc_lo, v31, v9, vcc_lo
	ds_load_b128 v[8:11], v28 offset:3808
	ds_load_b128 v[12:15], v28 offset:4080
	;; [unrolled: 1-line block ×3, first 2 shown]
	v_lshlrev_b64_e32 v[24:25], 4, v[20:21]
	v_add_nc_u32_e32 v20, s0, v20
	s_delay_alu instid0(VALU_DEP_1) | instskip(SKIP_1) | instid1(VALU_DEP_4)
	v_lshlrev_b64_e32 v[28:29], 4, v[20:21]
	v_add_nc_u32_e32 v20, s0, v20
	v_add_co_u32 v24, vcc_lo, v30, v24
	s_wait_alu 0xfffd
	v_add_co_ci_u32_e32 v25, vcc_lo, v31, v25, vcc_lo
	s_delay_alu instid0(VALU_DEP_3) | instskip(SKIP_3) | instid1(VALU_DEP_3)
	v_lshlrev_b64_e32 v[20:21], 4, v[20:21]
	v_add_co_u32 v28, vcc_lo, v30, v28
	s_wait_alu 0xfffd
	v_add_co_ci_u32_e32 v29, vcc_lo, v31, v29, vcc_lo
	v_add_co_u32 v20, vcc_lo, v30, v20
	s_wait_alu 0xfffd
	v_add_co_ci_u32_e32 v21, vcc_lo, v31, v21, vcc_lo
	s_wait_dscnt 0x4
	global_store_b128 v[22:23], v[0:3], off
	s_wait_dscnt 0x3
	global_store_b128 v[26:27], v[4:7], off
	;; [unrolled: 2-line block ×5, first 2 shown]
.LBB0_12:
	s_nop 0
	s_sendmsg sendmsg(MSG_DEALLOC_VGPRS)
	s_endpgm
	.section	.rodata,"a",@progbits
	.p2align	6, 0x0
	.amdhsa_kernel fft_rtc_fwd_len289_factors_17_17_wgs_119_tpt_17_dp_op_CI_CI_sbrc_xy_z_unaligned
		.amdhsa_group_segment_fixed_size 0
		.amdhsa_private_segment_fixed_size 324
		.amdhsa_kernarg_size 104
		.amdhsa_user_sgpr_count 2
		.amdhsa_user_sgpr_dispatch_ptr 0
		.amdhsa_user_sgpr_queue_ptr 0
		.amdhsa_user_sgpr_kernarg_segment_ptr 1
		.amdhsa_user_sgpr_dispatch_id 0
		.amdhsa_user_sgpr_private_segment_size 0
		.amdhsa_wavefront_size32 1
		.amdhsa_uses_dynamic_stack 0
		.amdhsa_enable_private_segment 1
		.amdhsa_system_sgpr_workgroup_id_x 1
		.amdhsa_system_sgpr_workgroup_id_y 0
		.amdhsa_system_sgpr_workgroup_id_z 0
		.amdhsa_system_sgpr_workgroup_info 0
		.amdhsa_system_vgpr_workitem_id 0
		.amdhsa_next_free_vgpr 256
		.amdhsa_next_free_sgpr 70
		.amdhsa_reserve_vcc 1
		.amdhsa_float_round_mode_32 0
		.amdhsa_float_round_mode_16_64 0
		.amdhsa_float_denorm_mode_32 3
		.amdhsa_float_denorm_mode_16_64 3
		.amdhsa_fp16_overflow 0
		.amdhsa_workgroup_processor_mode 1
		.amdhsa_memory_ordered 1
		.amdhsa_forward_progress 0
		.amdhsa_round_robin_scheduling 0
		.amdhsa_exception_fp_ieee_invalid_op 0
		.amdhsa_exception_fp_denorm_src 0
		.amdhsa_exception_fp_ieee_div_zero 0
		.amdhsa_exception_fp_ieee_overflow 0
		.amdhsa_exception_fp_ieee_underflow 0
		.amdhsa_exception_fp_ieee_inexact 0
		.amdhsa_exception_int_div_zero 0
	.end_amdhsa_kernel
	.text
.Lfunc_end0:
	.size	fft_rtc_fwd_len289_factors_17_17_wgs_119_tpt_17_dp_op_CI_CI_sbrc_xy_z_unaligned, .Lfunc_end0-fft_rtc_fwd_len289_factors_17_17_wgs_119_tpt_17_dp_op_CI_CI_sbrc_xy_z_unaligned
                                        ; -- End function
	.section	.AMDGPU.csdata,"",@progbits
; Kernel info:
; codeLenInByte = 16612
; NumSgprs: 72
; NumVgprs: 256
; ScratchSize: 324
; MemoryBound: 0
; FloatMode: 240
; IeeeMode: 1
; LDSByteSize: 0 bytes/workgroup (compile time only)
; SGPRBlocks: 8
; VGPRBlocks: 31
; NumSGPRsForWavesPerEU: 72
; NumVGPRsForWavesPerEU: 256
; Occupancy: 5
; WaveLimiterHint : 1
; COMPUTE_PGM_RSRC2:SCRATCH_EN: 1
; COMPUTE_PGM_RSRC2:USER_SGPR: 2
; COMPUTE_PGM_RSRC2:TRAP_HANDLER: 0
; COMPUTE_PGM_RSRC2:TGID_X_EN: 1
; COMPUTE_PGM_RSRC2:TGID_Y_EN: 0
; COMPUTE_PGM_RSRC2:TGID_Z_EN: 0
; COMPUTE_PGM_RSRC2:TIDIG_COMP_CNT: 0
	.text
	.p2alignl 7, 3214868480
	.fill 96, 4, 3214868480
	.type	__hip_cuid_43d77a21daa4f985,@object ; @__hip_cuid_43d77a21daa4f985
	.section	.bss,"aw",@nobits
	.globl	__hip_cuid_43d77a21daa4f985
__hip_cuid_43d77a21daa4f985:
	.byte	0                               ; 0x0
	.size	__hip_cuid_43d77a21daa4f985, 1

	.ident	"AMD clang version 19.0.0git (https://github.com/RadeonOpenCompute/llvm-project roc-6.4.0 25133 c7fe45cf4b819c5991fe208aaa96edf142730f1d)"
	.section	".note.GNU-stack","",@progbits
	.addrsig
	.addrsig_sym __hip_cuid_43d77a21daa4f985
	.amdgpu_metadata
---
amdhsa.kernels:
  - .args:
      - .actual_access:  read_only
        .address_space:  global
        .offset:         0
        .size:           8
        .value_kind:     global_buffer
      - .offset:         8
        .size:           8
        .value_kind:     by_value
      - .actual_access:  read_only
        .address_space:  global
        .offset:         16
        .size:           8
        .value_kind:     global_buffer
      - .actual_access:  read_only
        .address_space:  global
        .offset:         24
        .size:           8
        .value_kind:     global_buffer
      - .actual_access:  read_only
        .address_space:  global
        .offset:         32
        .size:           8
        .value_kind:     global_buffer
      - .offset:         40
        .size:           8
        .value_kind:     by_value
      - .actual_access:  read_only
        .address_space:  global
        .offset:         48
        .size:           8
        .value_kind:     global_buffer
      - .actual_access:  read_only
        .address_space:  global
        .offset:         56
        .size:           8
        .value_kind:     global_buffer
      - .offset:         64
        .size:           4
        .value_kind:     by_value
      - .actual_access:  read_only
        .address_space:  global
        .offset:         72
        .size:           8
        .value_kind:     global_buffer
      - .actual_access:  read_only
        .address_space:  global
        .offset:         80
        .size:           8
        .value_kind:     global_buffer
      - .actual_access:  read_only
        .address_space:  global
        .offset:         88
        .size:           8
        .value_kind:     global_buffer
      - .actual_access:  write_only
        .address_space:  global
        .offset:         96
        .size:           8
        .value_kind:     global_buffer
    .group_segment_fixed_size: 0
    .kernarg_segment_align: 8
    .kernarg_segment_size: 104
    .language:       OpenCL C
    .language_version:
      - 2
      - 0
    .max_flat_workgroup_size: 119
    .name:           fft_rtc_fwd_len289_factors_17_17_wgs_119_tpt_17_dp_op_CI_CI_sbrc_xy_z_unaligned
    .private_segment_fixed_size: 324
    .sgpr_count:     72
    .sgpr_spill_count: 0
    .symbol:         fft_rtc_fwd_len289_factors_17_17_wgs_119_tpt_17_dp_op_CI_CI_sbrc_xy_z_unaligned.kd
    .uniform_work_group_size: 1
    .uses_dynamic_stack: false
    .vgpr_count:     256
    .vgpr_spill_count: 96
    .wavefront_size: 32
    .workgroup_processor_mode: 1
amdhsa.target:   amdgcn-amd-amdhsa--gfx1201
amdhsa.version:
  - 1
  - 2
...

	.end_amdgpu_metadata
